;; amdgpu-corpus repo=ROCm/rocFFT kind=compiled arch=gfx1030 opt=O3
	.text
	.amdgcn_target "amdgcn-amd-amdhsa--gfx1030"
	.amdhsa_code_object_version 6
	.protected	bluestein_single_fwd_len528_dim1_half_op_CI_CI ; -- Begin function bluestein_single_fwd_len528_dim1_half_op_CI_CI
	.globl	bluestein_single_fwd_len528_dim1_half_op_CI_CI
	.p2align	8
	.type	bluestein_single_fwd_len528_dim1_half_op_CI_CI,@function
bluestein_single_fwd_len528_dim1_half_op_CI_CI: ; @bluestein_single_fwd_len528_dim1_half_op_CI_CI
; %bb.0:
	s_load_dwordx4 s[8:11], s[4:5], 0x28
	v_mul_u32_u24_e32 v1, 0x556, v0
	v_mov_b32_e32 v18, 0
	s_mov_b32 s0, exec_lo
	v_lshrrev_b32_e32 v1, 16, v1
	v_add_nc_u32_e32 v17, s6, v1
	s_waitcnt lgkmcnt(0)
	v_cmpx_gt_u64_e64 s[8:9], v[17:18]
	s_cbranch_execz .LBB0_31
; %bb.1:
	s_load_dwordx4 s[0:3], s[4:5], 0x18
	v_mul_lo_u16 v1, v1, 48
	v_sub_nc_u16 v7, v0, v1
	v_and_b32_e32 v38, 0xffff, v7
	v_lshlrev_b32_e32 v32, 2, v38
	s_waitcnt lgkmcnt(0)
	s_load_dwordx4 s[12:15], s[0:1], 0x0
	s_load_dwordx2 s[0:1], s[4:5], 0x0
	s_waitcnt lgkmcnt(0)
	s_clause 0x1
	global_load_dword v41, v32, s[0:1]
	global_load_dword v40, v32, s[0:1] offset:528
	v_mad_u64_u32 v[0:1], null, s14, v17, 0
	v_mad_u64_u32 v[2:3], null, s12, v38, 0
	s_mul_i32 s7, s13, 0x84
	s_mul_hi_u32 s8, s12, 0x84
	s_mul_i32 s6, s12, 0x84
	s_add_i32 s7, s8, s7
	s_clause 0x2
	global_load_dword v33, v32, s[0:1] offset:1776
	global_load_dword v37, v32, s[0:1] offset:1584
	;; [unrolled: 1-line block ×3, first 2 shown]
	v_mad_u64_u32 v[4:5], null, s15, v17, v[1:2]
	s_lshl_b64 s[14:15], s[6:7], 2
	s_mul_hi_u32 s6, s12, 0xfffffea4
	s_mul_i32 s7, s13, 0xfffffea4
	s_sub_i32 s8, s6, s12
	s_mul_i32 s6, s12, 0xfffffea4
	s_add_i32 s7, s8, s7
	v_mad_u64_u32 v[5:6], null, s13, v38, v[3:4]
	v_mov_b32_e32 v1, v4
	s_lshl_b64 s[12:13], s[6:7], 2
	v_lshlrev_b64 v[0:1], 2, v[0:1]
	v_mov_b32_e32 v3, v5
	v_lshlrev_b64 v[2:3], 2, v[2:3]
	v_add_co_u32 v0, vcc_lo, s10, v0
	v_add_co_ci_u32_e32 v1, vcc_lo, s11, v1, vcc_lo
	v_add_co_u32 v0, vcc_lo, v0, v2
	v_add_co_ci_u32_e32 v1, vcc_lo, v1, v3, vcc_lo
	s_clause 0x1
	global_load_dword v39, v32, s[0:1] offset:1056
	global_load_dword v35, v32, s[0:1] offset:720
	global_load_dword v6, v[0:1], off
	v_add_co_u32 v2, vcc_lo, v0, s14
	v_add_co_ci_u32_e32 v3, vcc_lo, s15, v1, vcc_lo
	global_load_dword v36, v32, s[0:1] offset:192
	v_add_co_u32 v0, vcc_lo, v2, s14
	v_add_co_ci_u32_e32 v1, vcc_lo, s15, v3, vcc_lo
	global_load_dword v8, v[2:3], off
	v_add_co_u32 v15, s0, s0, v32
	global_load_dword v9, v[0:1], off
	v_add_co_u32 v2, vcc_lo, v0, s14
	v_add_co_ci_u32_e32 v3, vcc_lo, s15, v1, vcc_lo
	v_add_co_ci_u32_e64 v16, null, s1, 0, s0
	v_add_co_u32 v0, vcc_lo, v2, s12
	v_add_co_ci_u32_e32 v1, vcc_lo, s13, v3, vcc_lo
	s_clause 0x1
	global_load_dword v10, v[2:3], off
	global_load_dword v11, v[0:1], off
	v_add_co_u32 v2, vcc_lo, v0, s14
	v_add_co_ci_u32_e32 v3, vcc_lo, s15, v1, vcc_lo
	v_add_co_u32 v4, vcc_lo, v2, s14
	v_add_co_ci_u32_e32 v5, vcc_lo, s15, v3, vcc_lo
	global_load_dword v2, v[2:3], off
	v_add_co_u32 v0, vcc_lo, v4, s14
	v_add_co_ci_u32_e32 v1, vcc_lo, s15, v5, vcc_lo
	global_load_dword v3, v[4:5], off
	global_load_dword v4, v[0:1], off
	s_load_dwordx2 s[6:7], s[4:5], 0x38
	s_load_dwordx4 s[8:11], s[2:3], 0x0
	v_cmp_gt_u16_e32 vcc_lo, 36, v7
	s_waitcnt vmcnt(8)
	v_lshrrev_b32_e32 v5, 16, v6
	v_mul_f16_sdwa v12, v41, v6 dst_sel:DWORD dst_unused:UNUSED_PAD src0_sel:WORD_1 src1_sel:DWORD
	v_mul_f16_sdwa v13, v41, v5 dst_sel:DWORD dst_unused:UNUSED_PAD src0_sel:WORD_1 src1_sel:DWORD
	v_fma_f16 v5, v41, v5, -v12
	s_waitcnt vmcnt(6)
	v_lshrrev_b32_e32 v14, 16, v8
	v_mul_f16_sdwa v18, v40, v8 dst_sel:DWORD dst_unused:UNUSED_PAD src0_sel:WORD_1 src1_sel:DWORD
	v_fmac_f16_e32 v13, v41, v6
	s_waitcnt vmcnt(5)
	v_lshrrev_b32_e32 v12, 16, v9
	v_mul_f16_sdwa v6, v40, v14 dst_sel:DWORD dst_unused:UNUSED_PAD src0_sel:WORD_1 src1_sel:DWORD
	v_fma_f16 v14, v40, v14, -v18
	v_mul_f16_sdwa v18, v39, v9 dst_sel:DWORD dst_unused:UNUSED_PAD src0_sel:WORD_1 src1_sel:DWORD
	v_pack_b32_f16 v5, v13, v5
	v_fmac_f16_e32 v6, v40, v8
	v_mul_f16_sdwa v8, v39, v12 dst_sel:DWORD dst_unused:UNUSED_PAD src0_sel:WORD_1 src1_sel:DWORD
	v_fma_f16 v12, v39, v12, -v18
	s_waitcnt vmcnt(4)
	v_lshrrev_b32_e32 v13, 16, v10
	v_mul_f16_sdwa v19, v37, v10 dst_sel:DWORD dst_unused:UNUSED_PAD src0_sel:WORD_1 src1_sel:DWORD
	v_pack_b32_f16 v6, v6, v14
	v_fmac_f16_e32 v8, v39, v9
	s_waitcnt vmcnt(3)
	v_lshrrev_b32_e32 v14, 16, v11
	v_mul_f16_sdwa v9, v37, v13 dst_sel:DWORD dst_unused:UNUSED_PAD src0_sel:WORD_1 src1_sel:DWORD
	v_fma_f16 v13, v37, v13, -v19
	v_mul_f16_sdwa v18, v36, v11 dst_sel:DWORD dst_unused:UNUSED_PAD src0_sel:WORD_1 src1_sel:DWORD
	ds_write_b32 v32, v6 offset:528
	v_pack_b32_f16 v6, v8, v12
	v_fmac_f16_e32 v9, v37, v10
	v_mul_f16_sdwa v8, v36, v14 dst_sel:DWORD dst_unused:UNUSED_PAD src0_sel:WORD_1 src1_sel:DWORD
	v_fma_f16 v10, v36, v14, -v18
	s_waitcnt vmcnt(2)
	v_lshrrev_b32_e32 v12, 16, v2
	v_mul_f16_sdwa v14, v35, v2 dst_sel:DWORD dst_unused:UNUSED_PAD src0_sel:WORD_1 src1_sel:DWORD
	ds_write_b32 v32, v6 offset:1056
	v_pack_b32_f16 v6, v9, v13
	v_fmac_f16_e32 v8, v36, v11
	v_mul_f16_sdwa v13, v35, v12 dst_sel:DWORD dst_unused:UNUSED_PAD src0_sel:WORD_1 src1_sel:DWORD
	s_waitcnt vmcnt(1)
	v_lshrrev_b32_e32 v9, 16, v3
	s_waitcnt vmcnt(0)
	v_lshrrev_b32_e32 v11, 16, v4
	v_fma_f16 v12, v35, v12, -v14
	v_mul_f16_sdwa v14, v34, v3 dst_sel:DWORD dst_unused:UNUSED_PAD src0_sel:WORD_1 src1_sel:DWORD
	v_mul_f16_sdwa v20, v33, v4 dst_sel:DWORD dst_unused:UNUSED_PAD src0_sel:WORD_1 src1_sel:DWORD
	;; [unrolled: 1-line block ×4, first 2 shown]
	v_fmac_f16_e32 v13, v35, v2
	v_fma_f16 v2, v34, v9, -v14
	ds_write_b32 v32, v6 offset:1584
	v_fmac_f16_e32 v18, v34, v3
	v_fmac_f16_e32 v19, v33, v4
	v_fma_f16 v3, v33, v11, -v20
	v_pack_b32_f16 v4, v8, v10
	v_pack_b32_f16 v6, v13, v12
	;; [unrolled: 1-line block ×4, first 2 shown]
	ds_write2_b32 v32, v5, v4 offset1:48
	ds_write_b32 v32, v6 offset:720
	ds_write_b32 v32, v2 offset:1248
	;; [unrolled: 1-line block ×3, first 2 shown]
	s_and_saveexec_b32 s1, vcc_lo
	s_cbranch_execz .LBB0_3
; %bb.2:
	v_add_co_u32 v0, s0, v0, s12
	v_add_co_ci_u32_e64 v1, s0, s13, v1, s0
	global_load_dword v5, v[15:16], off offset:384
	global_load_dword v4, v[0:1], off
	v_add_co_u32 v0, s0, v0, s14
	v_add_co_ci_u32_e64 v1, s0, s15, v1, s0
	v_add_co_u32 v2, s0, v0, s14
	v_add_co_ci_u32_e64 v3, s0, s15, v1, s0
	global_load_dword v6, v[0:1], off
	v_add_co_u32 v0, s0, v2, s14
	v_add_co_ci_u32_e64 v1, s0, s15, v3, s0
	global_load_dword v7, v[15:16], off offset:912
	global_load_dword v2, v[2:3], off
	global_load_dword v0, v[0:1], off
	s_clause 0x1
	global_load_dword v1, v[15:16], off offset:1440
	global_load_dword v3, v[15:16], off offset:1968
	s_waitcnt vmcnt(6)
	v_lshrrev_b32_e32 v8, 16, v4
	v_mul_f16_sdwa v9, v5, v4 dst_sel:DWORD dst_unused:UNUSED_PAD src0_sel:WORD_1 src1_sel:DWORD
	v_mul_f16_sdwa v10, v5, v8 dst_sel:DWORD dst_unused:UNUSED_PAD src0_sel:WORD_1 src1_sel:DWORD
	v_fma_f16 v8, v5, v8, -v9
	s_waitcnt vmcnt(5)
	v_lshrrev_b32_e32 v11, 16, v6
	v_fmac_f16_e32 v10, v5, v4
	s_waitcnt vmcnt(4)
	v_mul_f16_sdwa v9, v7, v6 dst_sel:DWORD dst_unused:UNUSED_PAD src0_sel:WORD_1 src1_sel:DWORD
	s_waitcnt vmcnt(3)
	v_lshrrev_b32_e32 v4, 16, v2
	s_waitcnt vmcnt(2)
	v_lshrrev_b32_e32 v12, 16, v0
	v_mul_f16_sdwa v5, v7, v11 dst_sel:DWORD dst_unused:UNUSED_PAD src0_sel:WORD_1 src1_sel:DWORD
	s_waitcnt vmcnt(0)
	v_mul_f16_sdwa v14, v3, v0 dst_sel:DWORD dst_unused:UNUSED_PAD src0_sel:WORD_1 src1_sel:DWORD
	v_fma_f16 v9, v7, v11, -v9
	v_mul_f16_sdwa v11, v1, v2 dst_sel:DWORD dst_unused:UNUSED_PAD src0_sel:WORD_1 src1_sel:DWORD
	v_mul_f16_sdwa v13, v1, v4 dst_sel:DWORD dst_unused:UNUSED_PAD src0_sel:WORD_1 src1_sel:DWORD
	;; [unrolled: 1-line block ×3, first 2 shown]
	v_fmac_f16_e32 v5, v7, v6
	v_fma_f16 v4, v1, v4, -v11
	v_fmac_f16_e32 v13, v1, v2
	v_fma_f16 v1, v3, v12, -v14
	v_fmac_f16_e32 v18, v3, v0
	v_pack_b32_f16 v0, v10, v8
	v_pack_b32_f16 v2, v5, v9
	;; [unrolled: 1-line block ×3, first 2 shown]
	v_add_nc_u32_e32 v4, 0x400, v32
	v_pack_b32_f16 v1, v18, v1
	ds_write2_b32 v32, v0, v2 offset0:96 offset1:228
	ds_write2_b32 v4, v3, v1 offset0:104 offset1:236
.LBB0_3:
	s_or_b32 exec_lo, exec_lo, s1
	v_add_nc_u32_e32 v5, 0x400, v32
	s_waitcnt lgkmcnt(0)
	s_barrier
	buffer_gl0_inv
	ds_read2_b32 v[0:1], v32 offset1:48
	ds_read2_b32 v[6:7], v32 offset0:132 offset1:180
	ds_read2_b32 v[8:9], v5 offset0:8 offset1:56
	ds_read2_b32 v[10:11], v5 offset0:140 offset1:188
                                        ; implicit-def: $vgpr2
                                        ; implicit-def: $vgpr4
	s_and_saveexec_b32 s0, vcc_lo
	s_cbranch_execz .LBB0_5
; %bb.4:
	ds_read2_b32 v[2:3], v32 offset0:96 offset1:228
	ds_read2_b32 v[4:5], v5 offset0:104 offset1:236
.LBB0_5:
	s_or_b32 exec_lo, exec_lo, s0
	s_waitcnt lgkmcnt(1)
	v_pk_add_f16 v13, v1, v9 neg_lo:[0,1] neg_hi:[0,1]
	v_pk_add_f16 v8, v0, v8 neg_lo:[0,1] neg_hi:[0,1]
	s_waitcnt lgkmcnt(0)
	v_pk_add_f16 v10, v6, v10 neg_lo:[0,1] neg_hi:[0,1]
	v_pk_add_f16 v14, v7, v11 neg_lo:[0,1] neg_hi:[0,1]
	;; [unrolled: 1-line block ×4, first 2 shown]
	v_lshrrev_b32_e32 v11, 16, v13
	v_lshrrev_b32_e32 v12, 16, v8
	v_sub_f16_sdwa v18, v8, v10 dst_sel:DWORD dst_unused:UNUSED_PAD src0_sel:DWORD src1_sel:WORD_1
	v_pk_fma_f16 v20, v2, 2.0, v9 op_sel_hi:[1,0,1] neg_lo:[0,0,1] neg_hi:[0,0,1]
	v_pk_fma_f16 v2, v3, 2.0, v5 op_sel_hi:[1,0,1] neg_lo:[0,0,1] neg_hi:[0,0,1]
	v_add_f16_e32 v26, v11, v14
	v_lshrrev_b32_e32 v24, 16, v9
	v_add_f16_e32 v19, v12, v10
	v_sub_f16_sdwa v21, v13, v14 dst_sel:DWORD dst_unused:UNUSED_PAD src0_sel:DWORD src1_sel:WORD_1
	v_fma_f16 v3, v8, 2.0, -v18
	v_sub_f16_sdwa v4, v9, v5 dst_sel:DWORD dst_unused:UNUSED_PAD src0_sel:DWORD src1_sel:WORD_1
	v_pk_fma_f16 v8, v0, 2.0, v8 op_sel_hi:[1,0,1] neg_lo:[0,0,1] neg_hi:[0,0,1]
	v_pk_fma_f16 v10, v6, 2.0, v10 op_sel_hi:[1,0,1] neg_lo:[0,0,1] neg_hi:[0,0,1]
	v_pk_add_f16 v2, v20, v2 neg_lo:[0,1] neg_hi:[0,1]
	v_fma_f16 v28, v11, 2.0, -v26
	v_add_f16_e32 v11, v5, v24
	v_pk_fma_f16 v1, v1, 2.0, v13 op_sel_hi:[1,0,1] neg_lo:[0,0,1] neg_hi:[0,0,1]
	v_pk_fma_f16 v5, v7, 2.0, v14 op_sel_hi:[1,0,1] neg_lo:[0,0,1] neg_hi:[0,0,1]
	v_add_co_u32 v23, null, v38, 48
	v_add_co_u32 v22, null, 0x60, v38
	v_fma_f16 v12, v12, 2.0, -v19
	v_fma_f16 v27, v13, 2.0, -v21
	;; [unrolled: 1-line block ×3, first 2 shown]
	v_pk_add_f16 v9, v8, v10 neg_lo:[0,1] neg_hi:[0,1]
	v_pk_fma_f16 v0, v20, 2.0, v2 op_sel_hi:[1,0,1] neg_lo:[0,0,1] neg_hi:[0,0,1]
	v_pk_add_f16 v20, v1, v5 neg_lo:[0,1] neg_hi:[0,1]
	v_fma_f16 v24, v24, 2.0, -v11
	v_lshlrev_b32_e32 v29, 4, v38
	v_pk_fma_f16 v7, v8, 2.0, v9 op_sel_hi:[1,0,1] neg_lo:[0,0,1] neg_hi:[0,0,1]
	v_pack_b32_f16 v10, v18, v19
	v_pack_b32_f16 v8, v3, v12
	v_lshlrev_b32_e32 v25, 2, v23
	v_lshlrev_b32_e32 v30, 4, v23
	v_pack_b32_f16 v19, v27, v28
	v_lshlrev_b32_e32 v28, 4, v22
	v_pk_fma_f16 v18, v1, 2.0, v20 op_sel_hi:[1,0,1] neg_lo:[0,0,1] neg_hi:[0,0,1]
	v_pack_b32_f16 v21, v21, v26
	s_barrier
	buffer_gl0_inv
	ds_write_b128 v29, v[7:10]
	ds_write_b128 v30, v[18:21]
	s_and_saveexec_b32 s0, vcc_lo
	s_cbranch_execz .LBB0_7
; %bb.6:
	v_perm_b32 v3, v11, v4, 0x5040100
	v_perm_b32 v1, v24, v6, 0x5040100
	ds_write_b128 v28, v[0:3]
.LBB0_7:
	s_or_b32 exec_lo, exec_lo, s0
	v_add_nc_u32_e32 v1, 0x400, v32
	s_waitcnt lgkmcnt(0)
	s_barrier
	buffer_gl0_inv
	ds_read2_b32 v[7:8], v32 offset1:48
	ds_read2_b32 v[18:19], v32 offset0:132 offset1:180
	ds_read2_b32 v[9:10], v1 offset0:8 offset1:56
	;; [unrolled: 1-line block ×3, first 2 shown]
	s_load_dwordx2 s[2:3], s[4:5], 0x8
	s_and_saveexec_b32 s0, vcc_lo
	s_cbranch_execz .LBB0_9
; %bb.8:
	ds_read2_b32 v[5:6], v32 offset0:96 offset1:228
	ds_read2_b32 v[3:4], v1 offset0:104 offset1:236
	s_waitcnt lgkmcnt(0)
	v_lshrrev_b32_e32 v24, 16, v6
	v_lshrrev_b32_e32 v11, 16, v4
	v_mov_b32_e32 v2, v3
	v_mov_b32_e32 v0, v5
.LBB0_9:
	s_or_b32 exec_lo, exec_lo, s0
	v_and_b32_e32 v42, 3, v38
	s_waitcnt lgkmcnt(0)
	v_lshrrev_b32_e32 v3, 16, v18
	v_lshrrev_b32_e32 v5, 16, v9
	;; [unrolled: 1-line block ×4, first 2 shown]
	v_mad_u64_u32 v[12:13], null, v42, 12, s[2:3]
	v_and_or_b32 v45, 0xf0, v32, v42
	v_and_or_b32 v25, 0x1f0, v25, v42
	v_lshrrev_b32_e32 v43, 16, v10
	v_lshrrev_b32_e32 v47, 16, v21
	;; [unrolled: 1-line block ×3, first 2 shown]
	v_lshlrev_b32_e32 v46, 2, v45
	global_load_dwordx3 v[12:14], v[12:13], off
	v_lshlrev_b32_e32 v45, 2, v25
	v_lshrrev_b32_e32 v1, 16, v7
	v_lshrrev_b32_e32 v27, 16, v8
	;; [unrolled: 1-line block ×3, first 2 shown]
	v_lshlrev_b32_e32 v44, 2, v22
	s_waitcnt vmcnt(0)
	s_barrier
	buffer_gl0_inv
	v_mul_f16_sdwa v25, v3, v12 dst_sel:DWORD dst_unused:UNUSED_PAD src0_sel:DWORD src1_sel:WORD_1
	v_mul_f16_sdwa v50, v18, v12 dst_sel:DWORD dst_unused:UNUSED_PAD src0_sel:DWORD src1_sel:WORD_1
	;; [unrolled: 1-line block ×18, first 2 shown]
	v_fma_f16 v18, v18, v12, -v25
	v_fmac_f16_e32 v50, v3, v12
	v_fma_f16 v3, v9, v13, -v51
	v_fmac_f16_e32 v52, v5, v13
	;; [unrolled: 2-line block ×9, first 2 shown]
	v_sub_f16_e32 v21, v7, v3
	v_sub_f16_e32 v24, v1, v52
	;; [unrolled: 1-line block ×12, first 2 shown]
	v_fma_f16 v7, v7, 2.0, -v21
	v_fma_f16 v43, v1, 2.0, -v24
	v_fma_f16 v1, v18, 2.0, -v3
	v_fma_f16 v18, v50, 2.0, -v5
	v_fma_f16 v8, v8, 2.0, -v10
	v_fma_f16 v27, v27, 2.0, -v25
	v_fma_f16 v9, v9, 2.0, -v11
	v_fma_f16 v48, v56, 2.0, -v19
	v_sub_f16_e32 v19, v10, v19
	v_add_f16_e32 v50, v25, v11
	v_sub_f16_e32 v5, v21, v5
	v_add_f16_e32 v47, v24, v3
	v_fma_f16 v3, v0, 2.0, -v26
	v_fma_f16 v2, v49, 2.0, -v31
	;; [unrolled: 1-line block ×4, first 2 shown]
	v_sub_f16_e32 v11, v26, v20
	v_add_f16_e32 v20, v31, v4
	v_sub_f16_e32 v4, v7, v1
	v_sub_f16_e32 v18, v43, v18
	;; [unrolled: 1-line block ×4, first 2 shown]
	v_fma_f16 v10, v10, 2.0, -v19
	v_fma_f16 v25, v25, 2.0, -v50
	;; [unrolled: 1-line block ×4, first 2 shown]
	v_sub_f16_e32 v21, v2, v6
	v_pack_b32_f16 v6, v19, v50
	v_fma_f16 v7, v7, 2.0, -v4
	v_fma_f16 v19, v43, 2.0, -v18
	v_sub_f16_e32 v1, v3, v0
	v_fma_f16 v0, v26, 2.0, -v11
	v_fma_f16 v8, v8, 2.0, -v9
	v_fma_f16 v26, v27, 2.0, -v48
	v_pack_b32_f16 v5, v5, v47
	v_pack_b32_f16 v4, v4, v18
	;; [unrolled: 1-line block ×3, first 2 shown]
	v_fma_f16 v10, v31, 2.0, -v20
	v_pack_b32_f16 v24, v49, v24
	v_pack_b32_f16 v7, v7, v19
	;; [unrolled: 1-line block ×4, first 2 shown]
	ds_write2_b32 v46, v4, v5 offset0:8 offset1:12
	ds_write2_b32 v46, v7, v24 offset1:4
	ds_write2_b32 v45, v8, v18 offset1:4
	ds_write2_b32 v45, v9, v6 offset0:8 offset1:12
	s_and_saveexec_b32 s0, vcc_lo
	s_cbranch_execz .LBB0_11
; %bb.10:
	v_fma_f16 v3, v3, 2.0, -v1
	v_and_or_b32 v4, 0x3f0, v44, v42
	v_fma_f16 v2, v2, 2.0, -v21
	v_perm_b32 v5, v10, v0, 0x5040100
	v_perm_b32 v6, v20, v11, 0x5040100
	v_lshlrev_b32_e32 v4, 2, v4
	v_pack_b32_f16 v2, v3, v2
	v_perm_b32 v3, v21, v1, 0x5040100
	ds_write2_b32 v4, v2, v5 offset1:4
	ds_write2_b32 v4, v3, v6 offset0:8 offset1:12
.LBB0_11:
	s_or_b32 exec_lo, exec_lo, s0
	v_add_nc_u32_e32 v6, 0x400, v32
	v_add_nc_u32_e32 v18, 0x200, v32
	s_waitcnt lgkmcnt(0)
	s_barrier
	buffer_gl0_inv
	ds_read2_b32 v[4:5], v32 offset1:48
	ds_read2_b32 v[2:3], v32 offset0:96 offset1:176
	ds_read2_b32 v[8:9], v6 offset0:96 offset1:144
	;; [unrolled: 1-line block ×3, first 2 shown]
	ds_read_b32 v24, v32 offset:1792
	v_cmp_gt_u16_e64 s0, 32, v38
	s_and_saveexec_b32 s1, s0
	s_cbranch_execz .LBB0_13
; %bb.12:
	ds_read2_b32 v[0:1], v18 offset0:16 offset1:192
	ds_read_b32 v11, v32 offset:1984
	s_waitcnt lgkmcnt(1)
	v_lshrrev_b32_e32 v10, 16, v0
	v_lshrrev_b32_e32 v21, 16, v1
	s_waitcnt lgkmcnt(0)
	v_lshrrev_b32_e32 v20, 16, v11
.LBB0_13:
	s_or_b32 exec_lo, exec_lo, s1
	v_and_b32_e32 v43, 15, v38
	v_lshrrev_b32_e32 v47, 4, v38
	v_lshrrev_b32_e32 v23, 4, v23
	;; [unrolled: 1-line block ×3, first 2 shown]
	s_waitcnt lgkmcnt(3)
	v_lshrrev_b32_e32 v26, 16, v3
	v_lshlrev_b32_e32 v18, 3, v43
	s_waitcnt lgkmcnt(2)
	v_lshrrev_b32_e32 v27, 16, v8
	v_add_co_u32 v48, null, 0x90, v38
	v_mul_u32_u24_e32 v49, 48, v47
	global_load_dwordx2 v[18:19], v18, s[2:3] offset:48
	v_mul_u32_u24_e32 v23, 48, v23
	v_mul_u32_u24_e32 v22, 48, v22
	s_waitcnt lgkmcnt(1)
	v_lshrrev_b32_e32 v31, 16, v6
	v_lshrrev_b32_e32 v51, 16, v9
	;; [unrolled: 1-line block ×3, first 2 shown]
	s_waitcnt lgkmcnt(0)
	v_lshrrev_b32_e32 v55, 16, v24
	v_lshrrev_b32_e32 v47, 4, v48
	v_or_b32_e32 v48, v49, v43
	v_or_b32_e32 v23, v23, v43
	;; [unrolled: 1-line block ×3, first 2 shown]
	v_lshrrev_b32_e32 v25, 16, v4
	v_lshrrev_b32_e32 v52, 16, v5
	v_lshlrev_b32_e32 v50, 2, v48
	v_lshlrev_b32_e32 v49, 2, v23
	v_lshlrev_b32_e32 v48, 2, v22
	v_lshrrev_b32_e32 v53, 16, v2
	s_waitcnt vmcnt(0)
	s_barrier
	buffer_gl0_inv
	v_mul_f16_sdwa v56, v26, v18 dst_sel:DWORD dst_unused:UNUSED_PAD src0_sel:DWORD src1_sel:WORD_1
	v_mul_f16_sdwa v57, v3, v18 dst_sel:DWORD dst_unused:UNUSED_PAD src0_sel:DWORD src1_sel:WORD_1
	;; [unrolled: 1-line block ×16, first 2 shown]
	v_fma_f16 v56, v3, v18, -v56
	v_fmac_f16_e32 v57, v26, v18
	v_fma_f16 v8, v8, v19, -v58
	v_fmac_f16_e32 v59, v27, v19
	;; [unrolled: 2-line block ×8, first 2 shown]
	v_add_f16_e32 v20, v56, v8
	v_add_f16_e32 v27, v57, v59
	v_sub_f16_e32 v21, v57, v59
	v_add_f16_e32 v26, v25, v57
	v_add_f16_e32 v54, v6, v9
	;; [unrolled: 1-line block ×4, first 2 shown]
	v_sub_f16_e32 v31, v56, v8
	v_sub_f16_e32 v55, v61, v63
	v_add_f16_e32 v56, v52, v61
	v_add_f16_e32 v61, v7, v24
	v_sub_f16_e32 v62, v65, v67
	v_add_f16_e32 v64, v53, v65
	v_add_f16_e32 v65, v65, v67
	v_add_f16_e32 v68, v3, v1
	v_add_f16_e32 v69, v23, v22
	v_fma_f16 v20, -0.5, v20, v4
	v_fmac_f16_e32 v25, -0.5, v27
	v_add_f16_e32 v51, v5, v6
	v_sub_f16_e32 v58, v6, v9
	v_fmac_f16_e32 v5, -0.5, v54
	v_fmac_f16_e32 v52, -0.5, v57
	v_add_f16_e32 v60, v2, v7
	v_sub_f16_e32 v66, v7, v24
	v_fmac_f16_e32 v2, -0.5, v61
	v_fmac_f16_e32 v53, -0.5, v65
	v_sub_f16_e32 v6, v23, v22
	v_sub_f16_e32 v7, v3, v1
	v_add_f16_e32 v11, v11, v8
	v_add_f16_e32 v26, v26, v59
	;; [unrolled: 1-line block ×3, first 2 shown]
	v_fma_f16 v4, -0.5, v68, v0
	v_fma_f16 v8, -0.5, v69, v10
	v_fmamk_f16 v56, v21, 0x3aee, v20
	v_fmac_f16_e32 v20, 0xbaee, v21
	v_fmamk_f16 v21, v31, 0xbaee, v25
	v_fmac_f16_e32 v25, 0x3aee, v31
	v_add_f16_e32 v9, v51, v9
	v_fmamk_f16 v57, v55, 0x3aee, v5
	v_fmac_f16_e32 v5, 0xbaee, v55
	v_fmamk_f16 v55, v58, 0xbaee, v52
	v_fmac_f16_e32 v52, 0x3aee, v58
	v_add_f16_e32 v24, v60, v24
	v_add_f16_e32 v54, v64, v67
	v_fmamk_f16 v58, v62, 0x3aee, v2
	v_fmamk_f16 v59, v66, 0xbaee, v53
	v_fmac_f16_e32 v2, 0xbaee, v62
	v_fmac_f16_e32 v53, 0x3aee, v66
	v_fmamk_f16 v31, v6, 0xbaee, v4
	v_fmamk_f16 v51, v7, 0x3aee, v8
	v_pack_b32_f16 v11, v11, v26
	v_pack_b32_f16 v21, v56, v21
	;; [unrolled: 1-line block ×9, first 2 shown]
	ds_write2_b32 v50, v11, v21 offset1:16
	ds_write_b32 v50, v20 offset:128
	ds_write2_b32 v49, v9, v25 offset1:16
	ds_write_b32 v49, v5 offset:128
	;; [unrolled: 2-line block ×3, first 2 shown]
	s_and_saveexec_b32 s1, s0
	s_cbranch_execz .LBB0_15
; %bb.14:
	v_mul_f16_e32 v2, 0x3aee, v7
	v_add_f16_e32 v5, v10, v23
	v_mul_u32_u24_e32 v7, 48, v47
	v_add_f16_e32 v0, v0, v3
	v_mul_f16_e32 v3, 0x3aee, v6
	v_sub_f16_e32 v2, v8, v2
	v_add_f16_e32 v5, v5, v22
	v_or_b32_e32 v6, v7, v43
	v_add_f16_e32 v0, v0, v1
	v_add_f16_e32 v1, v3, v4
	v_lshlrev_b32_e32 v3, 2, v6
	v_pack_b32_f16 v0, v0, v5
	v_pack_b32_f16 v1, v1, v2
	v_perm_b32 v2, v51, v31, 0x5040100
	ds_write2_b32 v3, v0, v1 offset1:16
	ds_write_b32 v3, v2 offset:128
.LBB0_15:
	s_or_b32 exec_lo, exec_lo, s1
	v_mad_u64_u32 v[8:9], null, v38, 40, s[2:3]
	s_waitcnt lgkmcnt(0)
	s_barrier
	buffer_gl0_inv
	v_add_nc_u32_e32 v52, 0x400, v32
	v_add_co_u32 v56, s1, 0x800, v15
	s_clause 0x2
	global_load_dwordx4 v[4:7], v[8:9], off offset:176
	global_load_dwordx4 v[0:3], v[8:9], off offset:192
	global_load_dwordx2 v[20:21], v[8:9], off offset:208
	ds_read2_b32 v[8:9], v32 offset1:48
	ds_read2_b32 v[26:27], v32 offset0:96 offset1:144
	ds_read2_b32 v[24:25], v32 offset0:192 offset1:240
	ds_read_b32 v53, v32 offset:1920
	ds_read2_b32 v[22:23], v52 offset0:32 offset1:80
	ds_read2_b32 v[10:11], v52 offset0:128 offset1:176
	v_add_co_ci_u32_e64 v57, s1, 0, v16, s1
	s_waitcnt lgkmcnt(3)
	v_lshrrev_b32_e32 v59, 16, v24
	v_lshrrev_b32_e32 v54, 16, v9
	;; [unrolled: 1-line block ×3, first 2 shown]
	s_waitcnt lgkmcnt(2)
	v_lshrrev_b32_e32 v61, 16, v53
	s_waitcnt lgkmcnt(0)
	v_lshrrev_b32_e32 v65, 16, v11
	v_lshrrev_b32_e32 v58, 16, v27
	;; [unrolled: 1-line block ×6, first 2 shown]
	s_waitcnt vmcnt(2)
	v_mul_f16_sdwa v66, v54, v4 dst_sel:DWORD dst_unused:UNUSED_PAD src0_sel:DWORD src1_sel:WORD_1
	v_mul_f16_sdwa v67, v9, v4 dst_sel:DWORD dst_unused:UNUSED_PAD src0_sel:DWORD src1_sel:WORD_1
	v_mul_f16_sdwa v68, v55, v5 dst_sel:DWORD dst_unused:UNUSED_PAD src0_sel:DWORD src1_sel:WORD_1
	v_mul_f16_sdwa v69, v26, v5 dst_sel:DWORD dst_unused:UNUSED_PAD src0_sel:DWORD src1_sel:WORD_1
	v_mul_f16_sdwa v71, v27, v6 dst_sel:DWORD dst_unused:UNUSED_PAD src0_sel:DWORD src1_sel:WORD_1
	s_waitcnt vmcnt(0)
	v_mul_f16_sdwa v82, v65, v20 dst_sel:DWORD dst_unused:UNUSED_PAD src0_sel:DWORD src1_sel:WORD_1
	v_mul_f16_sdwa v84, v61, v21 dst_sel:DWORD dst_unused:UNUSED_PAD src0_sel:DWORD src1_sel:WORD_1
	;; [unrolled: 1-line block ×3, first 2 shown]
	v_fma_f16 v9, v9, v4, -v66
	v_fmac_f16_e32 v67, v54, v4
	v_mul_f16_sdwa v70, v58, v6 dst_sel:DWORD dst_unused:UNUSED_PAD src0_sel:DWORD src1_sel:WORD_1
	v_mul_f16_sdwa v72, v59, v7 dst_sel:DWORD dst_unused:UNUSED_PAD src0_sel:DWORD src1_sel:WORD_1
	;; [unrolled: 1-line block ×12, first 2 shown]
	v_fma_f16 v26, v26, v5, -v68
	v_fmac_f16_e32 v69, v55, v5
	v_fmac_f16_e32 v71, v58, v6
	v_fma_f16 v11, v11, v20, -v82
	v_fma_f16 v58, v53, v21, -v84
	v_fmac_f16_e32 v85, v61, v21
	v_add_f16_e32 v53, v8, v9
	v_add_f16_sdwa v54, v8, v67 dst_sel:DWORD dst_unused:UNUSED_PAD src0_sel:WORD_1 src1_sel:DWORD
	v_fma_f16 v27, v27, v6, -v70
	v_fma_f16 v24, v24, v7, -v72
	v_fmac_f16_e32 v73, v59, v7
	v_fma_f16 v25, v25, v0, -v74
	v_fmac_f16_e32 v75, v60, v0
	;; [unrolled: 2-line block ×5, first 2 shown]
	v_fmac_f16_e32 v83, v65, v20
	v_add_f16_e32 v55, v9, v58
	v_sub_f16_e32 v9, v9, v58
	v_sub_f16_e32 v60, v67, v85
	v_add_f16_e32 v61, v26, v11
	v_sub_f16_e32 v63, v26, v11
	v_add_f16_e32 v26, v53, v26
	v_add_f16_e32 v53, v54, v69
	;; [unrolled: 1-line block ×4, first 2 shown]
	v_sub_f16_e32 v64, v69, v83
	v_add_f16_e32 v65, v27, v10
	v_sub_f16_e32 v67, v27, v10
	v_sub_f16_e32 v68, v71, v81
	;; [unrolled: 1-line block ×6, first 2 shown]
	v_mul_f16_e32 v54, 0xb853, v60
	v_mul_f16_e32 v69, 0xb853, v9
	;; [unrolled: 1-line block ×6, first 2 shown]
	v_pk_mul_f16 v60, 0xbb47bbeb, v60 op_sel_hi:[1,0]
	v_pk_mul_f16 v9, 0xbbebbb47, v9 op_sel_hi:[1,0]
	v_add_f16_e32 v26, v26, v27
	v_add_f16_e32 v27, v53, v71
	;; [unrolled: 1-line block ×7, first 2 shown]
	v_mul_f16_e32 v90, 0xbb47, v64
	v_mul_f16_e32 v91, 0xbb47, v63
	;; [unrolled: 1-line block ×9, first 2 shown]
	v_pk_mul_f16 v64, 0xba0c3482, v64 op_sel_hi:[1,0]
	v_pk_mul_f16 v63, 0x3482ba0c, v63 op_sel_hi:[1,0]
	;; [unrolled: 1-line block ×3, first 2 shown]
	v_mul_f16_e32 v99, 0xbbeb, v67
	v_mul_f16_e32 v100, 0xb853, v67
	v_mul_f16_e32 v101, 0xba0c, v67
	v_pk_mul_f16 v67, 0x3b473482, v67 op_sel_hi:[1,0]
	v_mul_f16_e32 v102, 0xba0c, v70
	v_mul_f16_e32 v103, 0xb482, v70
	v_mul_f16_e32 v104, 0x3b47, v70
	v_pk_mul_f16 v70, 0x3bebb853, v70 op_sel_hi:[1,0]
	;; [unrolled: 4-line block ×3, first 2 shown]
	v_mul_f16_e32 v108, 0xb482, v78
	v_pk_mul_f16 v109, 0x3853ba0c, v78 op_sel_hi:[1,0]
	v_mul_f16_e32 v110, 0x3b47, v78
	v_mul_f16_e32 v78, 0xbbeb, v78
	;; [unrolled: 1-line block ×3, first 2 shown]
	v_pk_mul_f16 v112, 0xba0c3853, v82 op_sel_hi:[1,0]
	v_mul_f16_e32 v113, 0x3b47, v82
	v_mul_f16_e32 v82, 0xbbeb, v82
	v_fma_f16 v53, v55, 0x3abb, -v54
	v_fmamk_f16 v71, v59, 0x3abb, v69
	v_fmac_f16_e32 v54, 0x3abb, v55
	v_fma_f16 v69, v59, 0x3abb, -v69
	v_fma_f16 v114, v55, 0xb93d, -v86
	v_fmamk_f16 v115, v59, 0xb93d, v87
	v_fmac_f16_e32 v86, 0xb93d, v55
	v_fma_f16 v87, v59, 0xb93d, -v87
	;; [unrolled: 4-line block ×3, first 2 shown]
	v_pk_fma_f16 v126, 0x36a6b08e, v55, v60 op_sel_hi:[1,0,1] neg_lo:[0,0,1] neg_hi:[0,0,1]
	v_pk_fma_f16 v127, 0xb08e36a6, v59, v9 op_sel_hi:[1,0,1]
	v_pk_fma_f16 v55, 0x36a6b08e, v55, v60 op_sel_hi:[1,0,1]
	v_pk_fma_f16 v9, 0xb08e36a6, v59, v9 op_sel_hi:[1,0,1] neg_lo:[0,0,1] neg_hi:[0,0,1]
	v_add_f16_e32 v24, v26, v24
	v_add_f16_e32 v26, v27, v73
	v_fma_f16 v118, v61, 0x36a6, -v90
	v_fmamk_f16 v119, v62, 0x36a6, v91
	v_fmac_f16_e32 v90, 0x36a6, v61
	v_fma_f16 v91, v62, 0x36a6, -v91
	v_fma_f16 v120, v61, 0xb08e, -v92
	v_fmamk_f16 v121, v62, 0xb08e, v93
	v_fmac_f16_e32 v92, 0xb08e, v61
	v_fma_f16 v93, v62, 0xb08e, -v93
	;; [unrolled: 4-line block ×3, first 2 shown]
	v_fma_f16 v124, v65, 0xb08e, -v96
	v_fmac_f16_e32 v96, 0xb08e, v65
	v_fma_f16 v125, v65, 0x3abb, -v97
	v_fmac_f16_e32 v97, 0x3abb, v65
	;; [unrolled: 2-line block ×3, first 2 shown]
	v_pk_fma_f16 v60, 0xb93dbbad, v61, v64 op_sel_hi:[1,0,1] neg_lo:[0,0,1] neg_hi:[0,0,1]
	v_pk_fma_f16 v61, 0xb93dbbad, v61, v64 op_sel_hi:[1,0,1]
	v_pk_fma_f16 v64, 0xbbadb93d, v62, v63 op_sel_hi:[1,0,1]
	v_pk_fma_f16 v62, 0xbbadb93d, v62, v63 op_sel_hi:[1,0,1] neg_lo:[0,0,1] neg_hi:[0,0,1]
	v_pk_fma_f16 v63, 0xbbad36a6, v65, v68 op_sel_hi:[1,0,1] neg_lo:[0,0,1] neg_hi:[0,0,1]
	v_pk_fma_f16 v65, 0xbbad36a6, v65, v68 op_sel_hi:[1,0,1]
	v_fmamk_f16 v68, v66, 0xb08e, v99
	v_fma_f16 v99, v66, 0xb08e, -v99
	v_fmamk_f16 v128, v66, 0x3abb, v100
	v_fma_f16 v100, v66, 0x3abb, -v100
	;; [unrolled: 2-line block ×3, first 2 shown]
	v_pk_fma_f16 v130, 0x36a6bbad, v66, v67 op_sel_hi:[1,0,1]
	v_pk_fma_f16 v66, 0x36a6bbad, v66, v67 op_sel_hi:[1,0,1] neg_lo:[0,0,1] neg_hi:[0,0,1]
	v_fma_f16 v67, v72, 0xb93d, -v102
	v_fmac_f16_e32 v102, 0xb93d, v72
	v_fma_f16 v131, v72, 0xbbad, -v103
	v_fmac_f16_e32 v103, 0xbbad, v72
	;; [unrolled: 2-line block ×3, first 2 shown]
	v_pk_fma_f16 v133, 0xb08e3abb, v72, v70 op_sel_hi:[1,0,1] neg_lo:[0,0,1] neg_hi:[0,0,1]
	v_pk_fma_f16 v70, 0xb08e3abb, v72, v70 op_sel_hi:[1,0,1]
	v_fmamk_f16 v72, v76, 0xb93d, v105
	v_fma_f16 v105, v76, 0xb93d, -v105
	v_fmamk_f16 v134, v76, 0xbbad, v106
	v_fma_f16 v106, v76, 0xbbad, -v106
	;; [unrolled: 2-line block ×3, first 2 shown]
	v_pk_fma_f16 v136, 0x3abbb08e, v76, v74 op_sel_hi:[1,0,1]
	v_pk_fma_f16 v74, 0x3abbb08e, v76, v74 op_sel_hi:[1,0,1] neg_lo:[0,0,1] neg_hi:[0,0,1]
	v_fma_f16 v76, v80, 0xbbad, -v108
	v_fmac_f16_e32 v108, 0xbbad, v80
	v_pk_fma_f16 v137, 0x3abbb93d, v80, v109 op_sel_hi:[1,0,1] neg_lo:[0,0,1] neg_hi:[0,0,1]
	v_pk_fma_f16 v109, 0x3abbb93d, v80, v109 op_sel_hi:[1,0,1]
	v_fma_f16 v138, v80, 0x36a6, -v110
	v_fmac_f16_e32 v110, 0x36a6, v80
	v_fma_f16 v139, v80, 0xb08e, -v78
	v_fmac_f16_e32 v78, 0xb08e, v80
	v_fmamk_f16 v80, v84, 0xbbad, v111
	v_fma_f16 v111, v84, 0xbbad, -v111
	v_pk_fma_f16 v140, 0xb93d3abb, v84, v112 op_sel_hi:[1,0,1]
	v_pk_fma_f16 v112, 0xb93d3abb, v84, v112 op_sel_hi:[1,0,1] neg_lo:[0,0,1] neg_hi:[0,0,1]
	v_fmamk_f16 v141, v84, 0x36a6, v113
	v_fma_f16 v113, v84, 0x36a6, -v113
	v_fmamk_f16 v142, v84, 0xb08e, v82
	v_fma_f16 v82, v84, 0xb08e, -v82
	v_add_f16_e32 v53, v8, v53
	v_add_f16_sdwa v71, v8, v71 dst_sel:DWORD dst_unused:UNUSED_PAD src0_sel:WORD_1 src1_sel:DWORD
	v_add_f16_e32 v54, v8, v54
	v_add_f16_sdwa v69, v8, v69 dst_sel:DWORD dst_unused:UNUSED_PAD src0_sel:WORD_1 src1_sel:DWORD
	;; [unrolled: 2-line block ×6, first 2 shown]
	v_add_f16_sdwa v117, v8, v126 dst_sel:DWORD dst_unused:UNUSED_PAD src0_sel:DWORD src1_sel:WORD_1
	v_add_f16_sdwa v143, v8, v127 dst_sel:DWORD dst_unused:UNUSED_PAD src0_sel:WORD_1 src1_sel:DWORD
	v_add_f16_e32 v126, v8, v126
	v_add_f16_sdwa v27, v8, v127 dst_sel:DWORD dst_unused:UNUSED_PAD src0_sel:WORD_1 src1_sel:WORD_1
	v_pk_add_f16 v55, v8, v55 op_sel_hi:[0,1]
	v_pk_add_f16 v8, v8, v9 op_sel:[1,0]
	v_add_f16_e32 v9, v24, v25
	v_add_f16_e32 v24, v26, v75
	;; [unrolled: 1-line block ×15, first 2 shown]
	v_add_f16_sdwa v89, v60, v117 dst_sel:DWORD dst_unused:UNUSED_PAD src0_sel:WORD_1 src1_sel:DWORD
	v_add_f16_e32 v60, v60, v126
	v_add_f16_e32 v90, v64, v143
	v_add_f16_sdwa v27, v64, v27 dst_sel:DWORD dst_unused:UNUSED_PAD src0_sel:WORD_1 src1_sel:DWORD
	v_add_f16_e32 v71, v121, v114
	v_add_f16_e32 v84, v122, v115
	;; [unrolled: 1-line block ×3, first 2 shown]
	v_pk_add_f16 v55, v61, v55
	v_pk_add_f16 v8, v62, v8
	v_add_f16_e32 v24, v124, v25
	v_add_f16_e32 v25, v68, v26
	v_add_f16_e32 v9, v9, v10
	v_add_f16_e32 v10, v22, v81
	v_add_f16_e32 v26, v96, v53
	v_add_f16_e32 v53, v99, v54
	v_add_f16_e32 v54, v125, v69
	v_add_f16_e32 v62, v97, v73
	v_add_f16_sdwa v73, v63, v89 dst_sel:DWORD dst_unused:UNUSED_PAD src0_sel:WORD_1 src1_sel:DWORD
	v_add_f16_e32 v60, v63, v60
	v_add_f16_e32 v63, v130, v90
	v_add_f16_sdwa v27, v130, v27 dst_sel:DWORD dst_unused:UNUSED_PAD src0_sel:WORD_1 src1_sel:DWORD
	v_add_f16_e32 v61, v128, v71
	v_add_f16_e32 v64, v100, v75
	;; [unrolled: 1-line block ×4, first 2 shown]
	v_pk_add_f16 v55, v65, v55
	v_pk_add_f16 v8, v66, v8
	v_add_f16_e32 v69, v98, v87
	v_add_f16_e32 v71, v101, v88
	;; [unrolled: 1-line block ×9, first 2 shown]
	v_add_f16_sdwa v53, v133, v73 dst_sel:DWORD dst_unused:UNUSED_PAD src0_sel:WORD_1 src1_sel:DWORD
	v_add_f16_e32 v54, v136, v63
	v_add_f16_e32 v60, v133, v60
	v_add_f16_sdwa v27, v136, v27 dst_sel:DWORD dst_unused:UNUSED_PAD src0_sel:WORD_1 src1_sel:DWORD
	v_add_f16_e32 v61, v134, v61
	v_add_f16_e32 v64, v106, v64
	;; [unrolled: 1-line block ×4, first 2 shown]
	v_pk_add_f16 v63, v70, v55
	v_pk_add_f16 v8, v74, v8
	v_add_f16_e32 v62, v103, v62
	v_add_f16_e32 v67, v104, v69
	;; [unrolled: 1-line block ×9, first 2 shown]
	v_add_f16_sdwa v25, v137, v53 dst_sel:DWORD dst_unused:UNUSED_PAD src0_sel:WORD_1 src1_sel:DWORD
	v_add_f16_e32 v26, v140, v54
	v_add_f16_e32 v60, v137, v60
	v_add_f16_sdwa v27, v140, v27 dst_sel:DWORD dst_unused:UNUSED_PAD src0_sel:WORD_1 src1_sel:DWORD
	v_pk_add_f16 v54, v109, v63
	v_pk_add_f16 v53, v112, v8
	v_add_f16_e32 v8, v138, v65
	v_add_f16_e32 v61, v141, v61
	;; [unrolled: 1-line block ×8, first 2 shown]
	v_pack_b32_f16 v22, v22, v23
	v_pack_b32_f16 v9, v9, v10
	;; [unrolled: 1-line block ×8, first 2 shown]
	v_bfi_b32 v27, 0xffff, v54, v53
	v_alignbit_b32 v58, v53, v54, 16
	v_pack_b32_f16 v59, v24, v55
	ds_write2_b32 v32, v9, v22 offset1:48
	ds_write2_b32 v32, v23, v25 offset0:96 offset1:144
	ds_write2_b32 v32, v8, v26 offset0:192 offset1:240
	;; [unrolled: 1-line block ×4, first 2 shown]
	ds_write_b32 v32, v59 offset:1920
	s_waitcnt lgkmcnt(0)
	s_barrier
	buffer_gl0_inv
	global_load_dword v22, v[56:57], off offset:64
	v_add_co_u32 v8, s1, 0x840, v15
	v_add_co_ci_u32_e64 v9, s1, 0, v16, s1
	s_clause 0x6
	global_load_dword v27, v[8:9], off offset:192
	global_load_dword v58, v[8:9], off offset:528
	;; [unrolled: 1-line block ×7, first 2 shown]
	ds_read2_b32 v[10:11], v32 offset1:48
	s_waitcnt lgkmcnt(0)
	v_lshrrev_b32_e32 v23, 16, v10
	s_waitcnt vmcnt(7)
	v_mul_f16_sdwa v25, v23, v22 dst_sel:DWORD dst_unused:UNUSED_PAD src0_sel:DWORD src1_sel:WORD_1
	v_mul_f16_sdwa v26, v10, v22 dst_sel:DWORD dst_unused:UNUSED_PAD src0_sel:DWORD src1_sel:WORD_1
	s_waitcnt vmcnt(6)
	v_mul_f16_sdwa v65, v11, v27 dst_sel:DWORD dst_unused:UNUSED_PAD src0_sel:DWORD src1_sel:WORD_1
	v_fma_f16 v10, v10, v22, -v25
	v_fmac_f16_e32 v26, v23, v22
	v_pack_b32_f16 v10, v10, v26
	ds_write_b32 v32, v10
	ds_read2_b32 v[22:23], v32 offset0:132 offset1:180
	ds_read2_b32 v[25:26], v52 offset0:8 offset1:56
	;; [unrolled: 1-line block ×3, first 2 shown]
	v_lshrrev_b32_e32 v10, 16, v11
	v_mul_f16_sdwa v64, v10, v27 dst_sel:DWORD dst_unused:UNUSED_PAD src0_sel:DWORD src1_sel:WORD_1
	v_fmac_f16_e32 v65, v10, v27
	v_add_nc_u32_e32 v10, 0x200, v32
	v_fma_f16 v11, v11, v27, -v64
	v_pack_b32_f16 v11, v11, v65
	s_waitcnt lgkmcnt(2)
	v_lshrrev_b32_e32 v27, 16, v22
	s_waitcnt vmcnt(5)
	v_mul_f16_sdwa v64, v22, v58 dst_sel:DWORD dst_unused:UNUSED_PAD src0_sel:DWORD src1_sel:WORD_1
	s_waitcnt lgkmcnt(1)
	v_lshrrev_b32_e32 v65, 16, v25
	s_waitcnt vmcnt(4)
	v_mul_f16_sdwa v66, v25, v59 dst_sel:DWORD dst_unused:UNUSED_PAD src0_sel:DWORD src1_sel:WORD_1
	;; [unrolled: 4-line block ×3, first 2 shown]
	v_lshrrev_b32_e32 v69, 16, v23
	s_waitcnt vmcnt(0)
	v_mul_f16_sdwa v70, v23, v63 dst_sel:DWORD dst_unused:UNUSED_PAD src0_sel:DWORD src1_sel:WORD_1
	v_lshrrev_b32_e32 v71, 16, v26
	v_mul_f16_sdwa v72, v26, v62 dst_sel:DWORD dst_unused:UNUSED_PAD src0_sel:DWORD src1_sel:WORD_1
	v_lshrrev_b32_e32 v73, 16, v57
	v_mul_f16_sdwa v75, v27, v58 dst_sel:DWORD dst_unused:UNUSED_PAD src0_sel:DWORD src1_sel:WORD_1
	v_fmac_f16_e32 v64, v27, v58
	v_mul_f16_sdwa v27, v65, v59 dst_sel:DWORD dst_unused:UNUSED_PAD src0_sel:DWORD src1_sel:WORD_1
	v_fmac_f16_e32 v66, v65, v59
	;; [unrolled: 2-line block ×4, first 2 shown]
	v_mul_f16_sdwa v69, v71, v62 dst_sel:DWORD dst_unused:UNUSED_PAD src0_sel:DWORD src1_sel:WORD_1
	v_mul_f16_sdwa v74, v57, v60 dst_sel:DWORD dst_unused:UNUSED_PAD src0_sel:DWORD src1_sel:WORD_1
	v_fmac_f16_e32 v72, v71, v62
	v_mul_f16_sdwa v71, v73, v60 dst_sel:DWORD dst_unused:UNUSED_PAD src0_sel:DWORD src1_sel:WORD_1
	v_fma_f16 v22, v22, v58, -v75
	v_fma_f16 v25, v25, v59, -v27
	v_fma_f16 v23, v23, v63, -v67
	v_fma_f16 v27, v56, v61, -v65
	v_fma_f16 v26, v26, v62, -v69
	v_fmac_f16_e32 v74, v73, v60
	v_fma_f16 v56, v57, v60, -v71
	v_pack_b32_f16 v22, v22, v64
	v_pack_b32_f16 v25, v25, v66
	;; [unrolled: 1-line block ×6, first 2 shown]
	ds_write2_b32 v32, v11, v22 offset0:48 offset1:132
	ds_write2_b32 v10, v23, v25 offset0:52 offset1:136
	;; [unrolled: 1-line block ×3, first 2 shown]
	ds_write_b32 v32, v56 offset:1776
	s_and_saveexec_b32 s1, vcc_lo
	s_cbranch_execz .LBB0_17
; %bb.16:
	s_clause 0x3
	global_load_dword v10, v[8:9], off offset:384
	global_load_dword v11, v[8:9], off offset:912
	;; [unrolled: 1-line block ×4, first 2 shown]
	ds_read2_b32 v[8:9], v32 offset0:96 offset1:228
	s_waitcnt lgkmcnt(0)
	v_lshrrev_b32_e32 v25, 16, v8
	v_lshrrev_b32_e32 v26, 16, v9
	s_waitcnt vmcnt(3)
	v_mul_f16_sdwa v27, v25, v10 dst_sel:DWORD dst_unused:UNUSED_PAD src0_sel:DWORD src1_sel:WORD_1
	v_mul_f16_sdwa v56, v8, v10 dst_sel:DWORD dst_unused:UNUSED_PAD src0_sel:DWORD src1_sel:WORD_1
	s_waitcnt vmcnt(2)
	v_mul_f16_sdwa v57, v26, v11 dst_sel:DWORD dst_unused:UNUSED_PAD src0_sel:DWORD src1_sel:WORD_1
	v_mul_f16_sdwa v58, v9, v11 dst_sel:DWORD dst_unused:UNUSED_PAD src0_sel:DWORD src1_sel:WORD_1
	v_fma_f16 v8, v8, v10, -v27
	v_fmac_f16_e32 v56, v25, v10
	v_fma_f16 v9, v9, v11, -v57
	v_fmac_f16_e32 v58, v26, v11
	v_pack_b32_f16 v8, v8, v56
	v_pack_b32_f16 v9, v9, v58
	ds_write2_b32 v32, v8, v9 offset0:96 offset1:228
	ds_read2_b32 v[8:9], v52 offset0:104 offset1:236
	s_waitcnt lgkmcnt(0)
	v_lshrrev_b32_e32 v10, 16, v8
	v_lshrrev_b32_e32 v11, 16, v9
	s_waitcnt vmcnt(1)
	v_mul_f16_sdwa v25, v8, v22 dst_sel:DWORD dst_unused:UNUSED_PAD src0_sel:DWORD src1_sel:WORD_1
	s_waitcnt vmcnt(0)
	v_mul_f16_sdwa v26, v9, v23 dst_sel:DWORD dst_unused:UNUSED_PAD src0_sel:DWORD src1_sel:WORD_1
	v_mul_f16_sdwa v27, v10, v22 dst_sel:DWORD dst_unused:UNUSED_PAD src0_sel:DWORD src1_sel:WORD_1
	;; [unrolled: 1-line block ×3, first 2 shown]
	v_fmac_f16_e32 v25, v10, v22
	v_fmac_f16_e32 v26, v11, v23
	v_fma_f16 v8, v8, v22, -v27
	v_fma_f16 v9, v9, v23, -v56
	v_pack_b32_f16 v8, v8, v25
	v_pack_b32_f16 v9, v9, v26
	ds_write2_b32 v52, v8, v9 offset0:104 offset1:236
.LBB0_17:
	s_or_b32 exec_lo, exec_lo, s1
	s_waitcnt lgkmcnt(0)
	s_barrier
	buffer_gl0_inv
	ds_read2_b32 v[8:9], v32 offset1:48
	ds_read2_b32 v[10:11], v32 offset0:132 offset1:180
	ds_read2_b32 v[26:27], v52 offset0:8 offset1:56
	;; [unrolled: 1-line block ×3, first 2 shown]
	v_lshrrev_b32_e32 v52, 16, v53
	v_lshrrev_b32_e32 v25, 16, v54
	v_perm_b32 v51, v55, v51, 0x5040100
	v_perm_b32 v55, v31, v24, 0x5040100
	v_mov_b32_e32 v31, v53
	v_mov_b32_e32 v24, v54
	s_and_saveexec_b32 s1, vcc_lo
	s_cbranch_execz .LBB0_19
; %bb.18:
	v_add_nc_u32_e32 v31, 0x400, v32
	ds_read2_b32 v[24:25], v32 offset0:96 offset1:228
	ds_read2_b32 v[55:56], v31 offset0:104 offset1:236
	s_waitcnt lgkmcnt(1)
	v_lshrrev_b32_e32 v52, 16, v24
	v_lshrrev_b32_e32 v31, 16, v25
	v_perm_b32 v53, v24, v25, 0x7060302
	v_perm_b32 v54, v25, v24, 0x5040100
	s_waitcnt lgkmcnt(0)
	v_perm_b32 v51, v55, v56, 0x7060302
	v_perm_b32 v55, v56, v55, 0x5040100
.LBB0_19:
	s_or_b32 exec_lo, exec_lo, s1
	v_pk_add_f16 v54, v54, v55 neg_lo:[0,1] neg_hi:[0,1]
	s_waitcnt lgkmcnt(1)
	v_pk_add_f16 v26, v8, v26 neg_lo:[0,1] neg_hi:[0,1]
	v_pk_add_f16 v53, v53, v51 neg_lo:[0,1] neg_hi:[0,1]
	s_waitcnt lgkmcnt(0)
	v_pk_add_f16 v56, v10, v22 neg_lo:[0,1] neg_hi:[0,1]
	v_pk_add_f16 v27, v9, v27 neg_lo:[0,1] neg_hi:[0,1]
	v_lshrrev_b32_e32 v51, 16, v54
	v_lshrrev_b32_e32 v22, 16, v26
	v_lshrrev_b32_e32 v57, 16, v53
	v_fma_f16 v60, v24, 2.0, -v54
	v_pk_add_f16 v23, v11, v23 neg_lo:[0,1] neg_hi:[0,1]
	v_fma_f16 v24, v25, 2.0, -v51
	v_sub_f16_e32 v58, v22, v56
	v_fma_f16 v61, v52, 2.0, -v57
	v_fma_f16 v25, v31, 2.0, -v53
	v_add_f16_sdwa v55, v26, v56 dst_sel:DWORD dst_unused:UNUSED_PAD src0_sel:DWORD src1_sel:WORD_1
	v_sub_f16_e32 v24, v60, v24
	v_lshrrev_b32_e32 v59, 16, v27
	v_add_f16_sdwa v62, v27, v23 dst_sel:DWORD dst_unused:UNUSED_PAD src0_sel:DWORD src1_sel:WORD_1
	v_sub_f16_e32 v52, v61, v25
	v_fma_f16 v25, v22, 2.0, -v58
	v_fma_f16 v22, v60, 2.0, -v24
	v_pk_add_f16 v60, v53, v54 neg_lo:[0,1] neg_hi:[0,1]
	v_pk_fma_f16 v8, v8, 2.0, v26 op_sel_hi:[1,0,1] neg_lo:[0,0,1] neg_hi:[0,0,1]
	v_pk_fma_f16 v10, v10, 2.0, v56 op_sel_hi:[1,0,1] neg_lo:[0,0,1] neg_hi:[0,0,1]
	v_fma_f16 v31, v26, 2.0, -v55
	v_sub_f16_e32 v63, v59, v23
	v_fma_f16 v64, v27, 2.0, -v62
	v_pk_add_f16 v26, v53, v54
	v_pk_fma_f16 v9, v9, 2.0, v27 op_sel_hi:[1,0,1] neg_lo:[0,0,1] neg_hi:[0,0,1]
	v_pk_fma_f16 v27, v11, 2.0, v23 op_sel_hi:[1,0,1] neg_lo:[0,0,1] neg_hi:[0,0,1]
	v_lshrrev_b32_e32 v53, 16, v60
	v_pk_add_f16 v56, v8, v10 neg_lo:[0,1] neg_hi:[0,1]
	v_fma_f16 v59, v59, 2.0, -v63
	v_bfi_b32 v11, 0xffff, v26, v60
	v_pk_add_f16 v60, v9, v27 neg_lo:[0,1] neg_hi:[0,1]
	v_fma_f16 v51, v61, 2.0, -v52
	v_fma_f16 v23, v54, 2.0, -v26
	;; [unrolled: 1-line block ×3, first 2 shown]
	v_pk_fma_f16 v54, v8, 2.0, v56 op_sel_hi:[1,0,1] neg_lo:[0,0,1] neg_hi:[0,0,1]
	v_pack_b32_f16 v57, v55, v58
	v_pack_b32_f16 v55, v31, v25
	v_pk_fma_f16 v58, v9, 2.0, v60 op_sel_hi:[1,0,1] neg_lo:[0,0,1] neg_hi:[0,0,1]
	v_pack_b32_f16 v61, v62, v63
	v_pack_b32_f16 v59, v64, v59
	s_barrier
	buffer_gl0_inv
	ds_write_b128 v29, v[54:57]
	ds_write_b128 v30, v[58:61]
	s_and_saveexec_b32 s1, vcc_lo
	s_cbranch_execz .LBB0_21
; %bb.20:
	v_perm_b32 v10, v52, v24, 0x5040100
	v_perm_b32 v9, v53, v23, 0x5040100
	v_perm_b32 v8, v51, v22, 0x5040100
	ds_write_b128 v28, v[8:11]
.LBB0_21:
	s_or_b32 exec_lo, exec_lo, s1
	v_add_nc_u32_e32 v10, 0x400, v32
	s_waitcnt lgkmcnt(0)
	s_barrier
	buffer_gl0_inv
	ds_read2_b32 v[8:9], v32 offset1:48
	ds_read2_b32 v[30:31], v32 offset0:132 offset1:180
	ds_read2_b32 v[26:27], v10 offset0:8 offset1:56
	ds_read2_b32 v[28:29], v10 offset0:140 offset1:188
	s_and_saveexec_b32 s1, vcc_lo
	s_cbranch_execz .LBB0_23
; %bb.22:
	ds_read2_b32 v[22:23], v32 offset0:96 offset1:228
	ds_read2_b32 v[24:25], v10 offset0:104 offset1:236
	s_waitcnt lgkmcnt(1)
	v_lshrrev_b32_e32 v51, 16, v22
	v_lshrrev_b32_e32 v53, 16, v23
	s_waitcnt lgkmcnt(0)
	v_lshrrev_b32_e32 v52, 16, v24
	v_mov_b32_e32 v11, v25
.LBB0_23:
	s_or_b32 exec_lo, exec_lo, s1
	s_waitcnt lgkmcnt(2)
	v_lshrrev_b32_e32 v10, 16, v30
	s_waitcnt lgkmcnt(1)
	v_lshrrev_b32_e32 v54, 16, v26
	;; [unrolled: 2-line block ×3, first 2 shown]
	v_lshrrev_b32_e32 v58, 16, v31
	v_mul_f16_sdwa v59, v12, v30 dst_sel:DWORD dst_unused:UNUSED_PAD src0_sel:WORD_1 src1_sel:DWORD
	v_mul_f16_sdwa v57, v12, v10 dst_sel:DWORD dst_unused:UNUSED_PAD src0_sel:WORD_1 src1_sel:DWORD
	v_lshrrev_b32_e32 v61, 16, v29
	v_mul_f16_sdwa v62, v14, v55 dst_sel:DWORD dst_unused:UNUSED_PAD src0_sel:WORD_1 src1_sel:DWORD
	v_mul_f16_sdwa v63, v14, v28 dst_sel:DWORD dst_unused:UNUSED_PAD src0_sel:WORD_1 src1_sel:DWORD
	v_lshrrev_b32_e32 v60, 16, v27
	v_fmac_f16_e32 v57, v12, v30
	v_mul_f16_sdwa v30, v13, v54 dst_sel:DWORD dst_unused:UNUSED_PAD src0_sel:WORD_1 src1_sel:DWORD
	v_fma_f16 v10, v12, v10, -v59
	v_mul_f16_sdwa v59, v13, v26 dst_sel:DWORD dst_unused:UNUSED_PAD src0_sel:WORD_1 src1_sel:DWORD
	v_fmac_f16_e32 v62, v14, v28
	v_fma_f16 v28, v14, v55, -v63
	v_fmac_f16_e32 v30, v13, v26
	v_mul_f16_sdwa v26, v12, v58 dst_sel:DWORD dst_unused:UNUSED_PAD src0_sel:WORD_1 src1_sel:DWORD
	v_mul_f16_sdwa v55, v12, v31 dst_sel:DWORD dst_unused:UNUSED_PAD src0_sel:WORD_1 src1_sel:DWORD
	v_mul_f16_sdwa v63, v14, v61 dst_sel:DWORD dst_unused:UNUSED_PAD src0_sel:WORD_1 src1_sel:DWORD
	v_fma_f16 v54, v13, v54, -v59
	v_mul_f16_sdwa v59, v13, v27 dst_sel:DWORD dst_unused:UNUSED_PAD src0_sel:WORD_1 src1_sel:DWORD
	v_fmac_f16_e32 v26, v12, v31
	v_mul_f16_sdwa v31, v13, v60 dst_sel:DWORD dst_unused:UNUSED_PAD src0_sel:WORD_1 src1_sel:DWORD
	v_fma_f16 v55, v12, v58, -v55
	v_mul_f16_sdwa v58, v14, v29 dst_sel:DWORD dst_unused:UNUSED_PAD src0_sel:WORD_1 src1_sel:DWORD
	v_fmac_f16_e32 v63, v14, v29
	v_mul_f16_sdwa v29, v12, v53 dst_sel:DWORD dst_unused:UNUSED_PAD src0_sel:WORD_1 src1_sel:DWORD
	v_lshrrev_b32_e32 v25, 16, v8
	v_fmac_f16_e32 v31, v13, v27
	v_fma_f16 v27, v13, v60, -v59
	v_mul_f16_sdwa v59, v12, v23 dst_sel:DWORD dst_unused:UNUSED_PAD src0_sel:WORD_1 src1_sel:DWORD
	v_mul_f16_sdwa v60, v13, v52 dst_sel:DWORD dst_unused:UNUSED_PAD src0_sel:WORD_1 src1_sel:DWORD
	v_fmac_f16_e32 v29, v12, v23
	v_lshrrev_b32_e32 v23, 16, v11
	v_lshrrev_b32_e32 v56, 16, v9
	v_fma_f16 v58, v14, v61, -v58
	v_mul_f16_sdwa v61, v13, v24 dst_sel:DWORD dst_unused:UNUSED_PAD src0_sel:WORD_1 src1_sel:DWORD
	v_fma_f16 v12, v12, v53, -v59
	v_fmac_f16_e32 v60, v13, v24
	v_sub_f16_e32 v24, v8, v30
	v_mul_f16_sdwa v30, v14, v23 dst_sel:DWORD dst_unused:UNUSED_PAD src0_sel:WORD_1 src1_sel:DWORD
	v_mul_f16_sdwa v53, v14, v11 dst_sel:DWORD dst_unused:UNUSED_PAD src0_sel:WORD_1 src1_sel:DWORD
	v_sub_f16_e32 v54, v25, v54
	v_fma_f16 v13, v13, v52, -v61
	v_sub_f16_e32 v52, v57, v62
	v_sub_f16_e32 v28, v10, v28
	v_fmac_f16_e32 v30, v14, v11
	v_fma_f16 v11, v14, v23, -v53
	v_fma_f16 v14, v25, 2.0, -v54
	v_sub_f16_e32 v25, v9, v31
	v_sub_f16_e32 v31, v56, v27
	;; [unrolled: 1-line block ×3, first 2 shown]
	v_fma_f16 v8, v8, 2.0, -v24
	v_fma_f16 v57, v57, 2.0, -v52
	;; [unrolled: 1-line block ×3, first 2 shown]
	v_sub_f16_e32 v53, v55, v58
	v_fma_f16 v9, v9, 2.0, -v25
	v_fma_f16 v26, v26, 2.0, -v27
	v_sub_f16_e32 v23, v8, v57
	v_sub_f16_e32 v57, v14, v10
	v_fma_f16 v10, v56, 2.0, -v31
	v_fma_f16 v55, v55, 2.0, -v53
	v_sub_f16_e32 v59, v9, v26
	v_fma_f16 v56, v8, 2.0, -v23
	v_add_f16_e32 v58, v24, v28
	v_sub_f16_e32 v52, v54, v52
	v_sub_f16_e32 v55, v10, v55
	v_fma_f16 v61, v14, 2.0, -v57
	v_fma_f16 v62, v9, 2.0, -v59
	v_sub_f16_e32 v8, v22, v60
	v_sub_f16_e32 v13, v51, v13
	;; [unrolled: 1-line block ×4, first 2 shown]
	v_add_f16_e32 v53, v25, v53
	v_sub_f16_e32 v64, v31, v27
	v_fma_f16 v24, v24, 2.0, -v58
	v_fma_f16 v54, v54, 2.0, -v52
	;; [unrolled: 1-line block ×7, first 2 shown]
	v_add_f16_e32 v26, v8, v14
	v_sub_f16_e32 v27, v13, v9
	v_fma_f16 v25, v25, 2.0, -v53
	v_fma_f16 v29, v31, 2.0, -v64
	v_sub_f16_e32 v9, v11, v22
	v_sub_f16_e32 v28, v10, v12
	v_fma_f16 v8, v8, 2.0, -v26
	v_fma_f16 v14, v13, 2.0, -v27
	v_pack_b32_f16 v12, v56, v61
	v_pack_b32_f16 v13, v24, v54
	v_pack_b32_f16 v22, v23, v57
	v_pack_b32_f16 v23, v58, v52
	v_pack_b32_f16 v24, v62, v63
	v_pack_b32_f16 v25, v25, v29
	v_pack_b32_f16 v29, v59, v55
	v_pack_b32_f16 v30, v53, v64
	s_barrier
	buffer_gl0_inv
	ds_write2_b32 v46, v12, v13 offset1:4
	ds_write2_b32 v46, v22, v23 offset0:8 offset1:12
	ds_write2_b32 v45, v24, v25 offset1:4
	ds_write2_b32 v45, v29, v30 offset0:8 offset1:12
	s_and_saveexec_b32 s1, vcc_lo
	s_cbranch_execz .LBB0_25
; %bb.24:
	v_fma_f16 v11, v11, 2.0, -v9
	v_and_or_b32 v12, 0x3f0, v44, v42
	v_fma_f16 v10, v10, 2.0, -v28
	v_perm_b32 v13, v14, v8, 0x5040100
	v_perm_b32 v22, v27, v26, 0x5040100
	v_lshlrev_b32_e32 v12, 2, v12
	v_pack_b32_f16 v10, v11, v10
	v_perm_b32 v11, v28, v9, 0x5040100
	ds_write2_b32 v12, v10, v13 offset1:4
	ds_write2_b32 v12, v11, v22 offset0:8 offset1:12
.LBB0_25:
	s_or_b32 exec_lo, exec_lo, s1
	v_add_nc_u32_e32 v22, 0x400, v32
	v_add_nc_u32_e32 v30, 0x200, v32
	s_waitcnt lgkmcnt(0)
	s_barrier
	buffer_gl0_inv
	ds_read2_b32 v[12:13], v32 offset1:48
	ds_read2_b32 v[10:11], v32 offset0:96 offset1:176
	ds_read2_b32 v[24:25], v22 offset0:96 offset1:144
	;; [unrolled: 1-line block ×3, first 2 shown]
	ds_read_b32 v29, v32 offset:1792
	s_and_saveexec_b32 s1, s0
	s_cbranch_execz .LBB0_27
; %bb.26:
	ds_read2_b32 v[8:9], v30 offset0:16 offset1:192
	ds_read_b32 v26, v32 offset:1984
	s_waitcnt lgkmcnt(1)
	v_lshrrev_b32_e32 v14, 16, v8
	v_lshrrev_b32_e32 v28, 16, v9
	s_waitcnt lgkmcnt(0)
	v_lshrrev_b32_e32 v27, 16, v26
.LBB0_27:
	s_or_b32 exec_lo, exec_lo, s1
	s_waitcnt lgkmcnt(3)
	v_lshrrev_b32_e32 v31, 16, v11
	s_waitcnt lgkmcnt(2)
	v_lshrrev_b32_e32 v42, 16, v24
	;; [unrolled: 2-line block ×3, first 2 shown]
	v_lshrrev_b32_e32 v46, 16, v25
	v_mul_f16_sdwa v54, v18, v11 dst_sel:DWORD dst_unused:UNUSED_PAD src0_sel:WORD_1 src1_sel:DWORD
	v_mul_f16_sdwa v52, v18, v31 dst_sel:DWORD dst_unused:UNUSED_PAD src0_sel:WORD_1 src1_sel:DWORD
	;; [unrolled: 1-line block ×3, first 2 shown]
	v_lshrrev_b32_e32 v53, 16, v23
	s_waitcnt lgkmcnt(0)
	v_lshrrev_b32_e32 v55, 16, v29
	v_fma_f16 v31, v18, v31, -v54
	v_fmac_f16_e32 v52, v18, v11
	v_mul_f16_sdwa v11, v19, v24 dst_sel:DWORD dst_unused:UNUSED_PAD src0_sel:WORD_1 src1_sel:DWORD
	v_fmac_f16_e32 v56, v19, v24
	v_mul_f16_sdwa v24, v18, v22 dst_sel:DWORD dst_unused:UNUSED_PAD src0_sel:WORD_1 src1_sel:DWORD
	v_mul_f16_sdwa v54, v18, v45 dst_sel:DWORD dst_unused:UNUSED_PAD src0_sel:WORD_1 src1_sel:DWORD
	v_lshrrev_b32_e32 v30, 16, v12
	v_fma_f16 v11, v19, v42, -v11
	v_mul_f16_sdwa v42, v19, v46 dst_sel:DWORD dst_unused:UNUSED_PAD src0_sel:WORD_1 src1_sel:DWORD
	v_fma_f16 v24, v18, v45, -v24
	v_mul_f16_sdwa v45, v18, v53 dst_sel:DWORD dst_unused:UNUSED_PAD src0_sel:WORD_1 src1_sel:DWORD
	v_fmac_f16_e32 v54, v18, v22
	v_mul_f16_sdwa v22, v19, v25 dst_sel:DWORD dst_unused:UNUSED_PAD src0_sel:WORD_1 src1_sel:DWORD
	v_fmac_f16_e32 v42, v19, v25
	;; [unrolled: 2-line block ×3, first 2 shown]
	v_mul_f16_sdwa v23, v19, v29 dst_sel:DWORD dst_unused:UNUSED_PAD src0_sel:WORD_1 src1_sel:DWORD
	v_fma_f16 v22, v19, v46, -v22
	v_mul_f16_sdwa v46, v19, v55 dst_sel:DWORD dst_unused:UNUSED_PAD src0_sel:WORD_1 src1_sel:DWORD
	v_fma_f16 v25, v18, v53, -v25
	v_add_f16_e32 v53, v52, v56
	v_fma_f16 v23, v19, v55, -v23
	v_add_f16_e32 v55, v31, v11
	v_fmac_f16_e32 v46, v19, v29
	v_add_f16_e32 v29, v12, v52
	v_fma_f16 v12, -0.5, v53, v12
	v_sub_f16_e32 v53, v31, v11
	v_add_f16_e32 v31, v30, v31
	v_fmac_f16_e32 v30, -0.5, v55
	v_sub_f16_e32 v52, v52, v56
	v_lshrrev_b32_e32 v44, 16, v13
	v_add_f16_e32 v29, v29, v56
	v_add_f16_e32 v11, v31, v11
	;; [unrolled: 1-line block ×3, first 2 shown]
	v_fmamk_f16 v55, v53, 0xbaee, v12
	v_fmac_f16_e32 v12, 0x3aee, v53
	v_fmamk_f16 v53, v52, 0x3aee, v30
	v_add_f16_e32 v56, v13, v54
	v_fmac_f16_e32 v30, 0xbaee, v52
	v_add_f16_e32 v52, v24, v22
	v_fmac_f16_e32 v13, -0.5, v31
	v_sub_f16_e32 v31, v24, v22
	v_add_f16_e32 v24, v44, v24
	v_add_f16_e32 v56, v56, v42
	v_fmac_f16_e32 v44, -0.5, v52
	v_sub_f16_e32 v42, v54, v42
	v_lshrrev_b32_e32 v51, 16, v10
	v_add_f16_e32 v22, v24, v22
	v_add_f16_e32 v24, v45, v46
	v_fmamk_f16 v52, v31, 0xbaee, v13
	v_fmac_f16_e32 v13, 0x3aee, v31
	v_fmamk_f16 v31, v42, 0x3aee, v44
	v_fmac_f16_e32 v44, 0xbaee, v42
	v_add_f16_e32 v42, v25, v23
	v_add_f16_e32 v54, v10, v45
	v_fmac_f16_e32 v10, -0.5, v24
	v_sub_f16_e32 v24, v25, v23
	v_add_f16_e32 v25, v51, v25
	v_fmac_f16_e32 v51, -0.5, v42
	v_sub_f16_e32 v42, v45, v46
	v_pack_b32_f16 v11, v29, v11
	v_add_f16_e32 v45, v54, v46
	v_add_f16_e32 v23, v25, v23
	v_pack_b32_f16 v25, v55, v53
	v_fmamk_f16 v46, v24, 0xbaee, v10
	v_fmac_f16_e32 v10, 0x3aee, v24
	v_fmamk_f16 v24, v42, 0x3aee, v51
	v_fmac_f16_e32 v51, 0xbaee, v42
	s_barrier
	buffer_gl0_inv
	ds_write2_b32 v50, v11, v25 offset1:16
	v_pack_b32_f16 v11, v12, v30
	v_pack_b32_f16 v12, v56, v22
	;; [unrolled: 1-line block ×7, first 2 shown]
	ds_write_b32 v50, v11 offset:128
	ds_write2_b32 v49, v12, v22 offset1:16
	ds_write_b32 v49, v13 offset:128
	ds_write2_b32 v48, v23, v24 offset1:16
	ds_write_b32 v48, v10 offset:128
	s_and_saveexec_b32 s1, s0
	s_cbranch_execz .LBB0_29
; %bb.28:
	v_mul_f16_sdwa v10, v18, v9 dst_sel:DWORD dst_unused:UNUSED_PAD src0_sel:WORD_1 src1_sel:DWORD
	v_mul_f16_sdwa v11, v19, v26 dst_sel:DWORD dst_unused:UNUSED_PAD src0_sel:WORD_1 src1_sel:DWORD
	;; [unrolled: 1-line block ×4, first 2 shown]
	v_fma_f16 v10, v18, v28, -v10
	v_fma_f16 v11, v19, v27, -v11
	v_fmac_f16_e32 v12, v18, v9
	v_fmac_f16_e32 v13, v19, v26
	v_add_f16_e32 v9, v11, v10
	v_sub_f16_e32 v22, v10, v11
	v_add_f16_e32 v18, v13, v12
	v_sub_f16_e32 v19, v12, v13
	v_add_f16_e32 v10, v10, v14
	v_fma_f16 v9, -0.5, v9, v14
	v_fma_f16 v14, -0.5, v18, v8
	v_mul_u32_u24_e32 v18, 48, v47
	v_add_f16_e32 v8, v8, v12
	v_add_f16_e32 v10, v11, v10
	v_fmamk_f16 v11, v19, 0xbaee, v9
	v_fmamk_f16 v12, v22, 0x3aee, v14
	v_fmac_f16_e32 v9, 0x3aee, v19
	v_or_b32_e32 v18, v18, v43
	v_add_f16_e32 v8, v13, v8
	v_fmac_f16_e32 v14, 0xbaee, v22
	v_lshlrev_b32_e32 v13, 2, v18
	v_pack_b32_f16 v8, v8, v10
	v_pack_b32_f16 v9, v14, v9
	;; [unrolled: 1-line block ×3, first 2 shown]
	ds_write2_b32 v13, v8, v9 offset1:16
	ds_write_b32 v13, v10 offset:128
.LBB0_29:
	s_or_b32 exec_lo, exec_lo, s1
	s_waitcnt lgkmcnt(0)
	s_barrier
	buffer_gl0_inv
	ds_read2_b32 v[9:10], v32 offset1:48
	ds_read2_b32 v[11:12], v32 offset0:96 offset1:144
	ds_read2_b32 v[13:14], v32 offset0:192 offset1:240
	v_add_nc_u32_e32 v8, 0x400, v32
	ds_read_b32 v24, v32 offset:1920
	ds_read2_b32 v[18:19], v8 offset0:32 offset1:80
	ds_read2_b32 v[22:23], v8 offset0:128 offset1:176
	s_mov_b32 s4, 0xf07c1f08
	s_mov_b32 s5, 0x3f5f07c1
	s_waitcnt lgkmcnt(5)
	v_lshrrev_b32_e32 v25, 16, v10
	s_waitcnt lgkmcnt(4)
	v_lshrrev_b32_e32 v26, 16, v11
	s_waitcnt lgkmcnt(3)
	v_lshrrev_b32_e32 v28, 16, v13
	v_mul_f16_sdwa v31, v4, v10 dst_sel:DWORD dst_unused:UNUSED_PAD src0_sel:WORD_1 src1_sel:DWORD
	v_lshrrev_b32_e32 v27, 16, v12
	v_mul_f16_sdwa v48, v4, v25 dst_sel:DWORD dst_unused:UNUSED_PAD src0_sel:WORD_1 src1_sel:DWORD
	v_mul_f16_sdwa v42, v5, v11 dst_sel:DWORD dst_unused:UNUSED_PAD src0_sel:WORD_1 src1_sel:DWORD
	;; [unrolled: 1-line block ×3, first 2 shown]
	v_fma_f16 v25, v4, v25, -v31
	v_mul_f16_sdwa v31, v5, v26 dst_sel:DWORD dst_unused:UNUSED_PAD src0_sel:WORD_1 src1_sel:DWORD
	v_fmac_f16_e32 v48, v4, v10
	v_mul_f16_sdwa v4, v7, v13 dst_sel:DWORD dst_unused:UNUSED_PAD src0_sel:WORD_1 src1_sel:DWORD
	v_lshrrev_b32_e32 v29, 16, v14
	v_mul_f16_sdwa v43, v6, v12 dst_sel:DWORD dst_unused:UNUSED_PAD src0_sel:WORD_1 src1_sel:DWORD
	v_fma_f16 v26, v5, v26, -v42
	v_mul_f16_sdwa v42, v6, v27 dst_sel:DWORD dst_unused:UNUSED_PAD src0_sel:WORD_1 src1_sel:DWORD
	v_fmac_f16_e32 v31, v5, v11
	v_fmac_f16_e32 v49, v7, v13
	v_fma_f16 v4, v7, v28, -v4
	v_add_f16_e32 v7, v9, v48
	s_waitcnt lgkmcnt(1)
	v_lshrrev_b32_e32 v44, 16, v18
	v_fmac_f16_e32 v42, v6, v12
	v_fma_f16 v5, v6, v27, -v43
	v_mul_f16_sdwa v6, v0, v29 dst_sel:DWORD dst_unused:UNUSED_PAD src0_sel:WORD_1 src1_sel:DWORD
	v_mul_f16_sdwa v10, v0, v14 dst_sel:DWORD dst_unused:UNUSED_PAD src0_sel:WORD_1 src1_sel:DWORD
	v_add_f16_sdwa v12, v9, v25 dst_sel:DWORD dst_unused:UNUSED_PAD src0_sel:WORD_1 src1_sel:DWORD
	v_add_f16_e32 v7, v7, v31
	v_lshrrev_b32_e32 v45, 16, v19
	v_mul_f16_sdwa v11, v1, v44 dst_sel:DWORD dst_unused:UNUSED_PAD src0_sel:WORD_1 src1_sel:DWORD
	v_fmac_f16_e32 v6, v0, v14
	v_fma_f16 v0, v0, v29, -v10
	v_mul_f16_sdwa v10, v1, v18 dst_sel:DWORD dst_unused:UNUSED_PAD src0_sel:WORD_1 src1_sel:DWORD
	v_add_f16_e32 v12, v12, v26
	v_add_f16_e32 v7, v7, v42
	s_waitcnt lgkmcnt(0)
	v_lshrrev_b32_e32 v46, 16, v22
	v_fmac_f16_e32 v11, v1, v18
	v_mul_f16_sdwa v13, v2, v45 dst_sel:DWORD dst_unused:UNUSED_PAD src0_sel:WORD_1 src1_sel:DWORD
	v_mul_f16_sdwa v14, v2, v19 dst_sel:DWORD dst_unused:UNUSED_PAD src0_sel:WORD_1 src1_sel:DWORD
	v_fma_f16 v1, v1, v44, -v10
	v_add_f16_e32 v10, v12, v5
	v_add_f16_e32 v7, v7, v49
	v_fmac_f16_e32 v13, v2, v19
	v_fma_f16 v2, v2, v45, -v14
	v_mul_f16_sdwa v12, v3, v46 dst_sel:DWORD dst_unused:UNUSED_PAD src0_sel:WORD_1 src1_sel:DWORD
	v_add_f16_e32 v10, v10, v4
	v_add_f16_e32 v7, v7, v6
	v_mul_f16_sdwa v14, v3, v22 dst_sel:DWORD dst_unused:UNUSED_PAD src0_sel:WORD_1 src1_sel:DWORD
	v_lshrrev_b32_e32 v30, 16, v24
	v_lshrrev_b32_e32 v47, 16, v23
	v_fmac_f16_e32 v12, v3, v22
	v_add_f16_e32 v10, v10, v0
	v_add_f16_e32 v7, v7, v11
	v_fma_f16 v3, v3, v46, -v14
	v_mul_f16_sdwa v14, v21, v24 dst_sel:DWORD dst_unused:UNUSED_PAD src0_sel:WORD_1 src1_sel:DWORD
	v_mul_f16_sdwa v18, v20, v47 dst_sel:DWORD dst_unused:UNUSED_PAD src0_sel:WORD_1 src1_sel:DWORD
	v_add_f16_e32 v10, v10, v1
	v_add_f16_e32 v7, v7, v13
	v_mul_f16_sdwa v19, v20, v23 dst_sel:DWORD dst_unused:UNUSED_PAD src0_sel:WORD_1 src1_sel:DWORD
	v_mul_f16_sdwa v22, v21, v30 dst_sel:DWORD dst_unused:UNUSED_PAD src0_sel:WORD_1 src1_sel:DWORD
	v_fma_f16 v14, v21, v30, -v14
	v_fmac_f16_e32 v18, v20, v23
	v_add_f16_e32 v10, v10, v2
	v_add_f16_e32 v7, v7, v12
	v_fma_f16 v19, v20, v47, -v19
	v_fmac_f16_e32 v22, v21, v24
	v_sub_f16_e32 v20, v25, v14
	v_add_f16_e32 v10, v10, v3
	v_add_f16_e32 v7, v7, v18
	;; [unrolled: 1-line block ×4, first 2 shown]
	v_mul_f16_e32 v24, 0xb853, v20
	v_sub_f16_e32 v54, v26, v19
	v_add_f16_e32 v10, v10, v19
	v_sub_f16_e32 v25, v48, v22
	v_mul_f16_e32 v27, 0x3abb, v21
	v_fmamk_f16 v28, v23, 0x3abb, v24
	v_add_f16_e32 v7, v7, v22
	v_mul_f16_e32 v22, 0xbb47, v20
	v_mul_f16_e32 v30, 0x36a6, v21
	;; [unrolled: 1-line block ×8, first 2 shown]
	v_add_f16_e32 v56, v31, v18
	v_mul_f16_e32 v57, 0xbb47, v54
	v_add_f16_e32 v19, v26, v19
	v_add_f16_e32 v10, v10, v14
	v_fmamk_f16 v14, v25, 0x3853, v27
	v_add_f16_e32 v28, v9, v28
	v_fma_f16 v24, v23, 0x3abb, -v24
	v_fmac_f16_e32 v27, 0xb853, v25
	v_fmamk_f16 v29, v23, 0x36a6, v22
	v_fmamk_f16 v44, v25, 0x3b47, v30
	v_fma_f16 v22, v23, 0x36a6, -v22
	v_fmac_f16_e32 v30, 0xbb47, v25
	v_fmamk_f16 v45, v23, 0xb08e, v43
	v_fmamk_f16 v47, v25, 0x3beb, v46
	;; [unrolled: 4-line block ×4, first 2 shown]
	v_fma_f16 v20, v23, 0xbbad, -v20
	v_fmac_f16_e32 v21, 0xb482, v25
	v_sub_f16_e32 v18, v31, v18
	v_fmamk_f16 v23, v56, 0x36a6, v57
	v_mul_f16_e32 v25, 0x36a6, v19
	v_add_f16_sdwa v14, v9, v14 dst_sel:DWORD dst_unused:UNUSED_PAD src0_sel:WORD_1 src1_sel:DWORD
	v_add_f16_e32 v24, v9, v24
	v_add_f16_sdwa v27, v9, v27 dst_sel:DWORD dst_unused:UNUSED_PAD src0_sel:WORD_1 src1_sel:DWORD
	v_add_f16_e32 v29, v9, v29
	;; [unrolled: 2-line block ×10, first 2 shown]
	v_fmamk_f16 v23, v18, 0x3b47, v25
	v_mul_f16_e32 v28, 0xba0c, v54
	v_fma_f16 v31, v56, 0x36a6, -v57
	v_fmac_f16_e32 v25, 0xbb47, v18
	v_mul_f16_e32 v55, 0xb93d, v19
	v_add_f16_e32 v14, v23, v14
	v_fmamk_f16 v23, v56, 0xb93d, v28
	v_add_f16_e32 v24, v31, v24
	v_add_f16_e32 v25, v25, v27
	v_fmamk_f16 v27, v18, 0x3a0c, v55
	v_mul_f16_e32 v31, 0x3482, v54
	v_add_f16_e32 v23, v23, v29
	v_fma_f16 v28, v56, 0xb93d, -v28
	v_fmac_f16_e32 v55, 0xba0c, v18
	v_add_f16_e32 v27, v27, v44
	v_fmamk_f16 v29, v56, 0xbbad, v31
	v_mul_f16_e32 v44, 0xbbad, v19
	v_add_f16_e32 v22, v28, v22
	v_add_f16_e32 v28, v55, v30
	v_mul_f16_e32 v30, 0x3beb, v54
	v_add_f16_e32 v29, v29, v45
	v_fmamk_f16 v45, v18, 0xb482, v44
	v_fma_f16 v31, v56, 0xbbad, -v31
	v_fmac_f16_e32 v44, 0x3482, v18
	v_mul_f16_e32 v57, 0xb08e, v19
	v_fmamk_f16 v55, v56, 0xb08e, v30
	v_mul_f16_e32 v19, 0x3abb, v19
	v_add_f16_e32 v31, v31, v43
	v_add_f16_e32 v43, v44, v46
	v_fmamk_f16 v46, v18, 0xbbeb, v57
	v_fma_f16 v30, v56, 0xb08e, -v30
	v_fmac_f16_e32 v57, 0x3beb, v18
	v_add_f16_e32 v45, v45, v47
	v_mul_f16_e32 v47, 0x3853, v54
	v_add_f16_e32 v46, v46, v52
	v_fmamk_f16 v52, v18, 0xb853, v19
	v_add_f16_e32 v30, v30, v48
	v_add_f16_e32 v48, v57, v50
	v_sub_f16_e32 v50, v5, v3
	v_add_f16_e32 v3, v5, v3
	v_add_f16_e32 v44, v55, v51
	v_fmamk_f16 v51, v56, 0x3abb, v47
	v_add_f16_e32 v26, v52, v26
	v_add_f16_e32 v52, v42, v12
	v_mul_f16_e32 v5, 0xbbeb, v50
	v_fma_f16 v47, v56, 0x3abb, -v47
	v_fmac_f16_e32 v19, 0x3853, v18
	v_sub_f16_e32 v12, v42, v12
	v_mul_f16_e32 v18, 0xb08e, v3
	v_fmamk_f16 v42, v52, 0xb08e, v5
	v_add_f16_e32 v20, v47, v20
	v_add_f16_e32 v9, v19, v9
	v_mul_f16_e32 v19, 0x3482, v50
	v_fmamk_f16 v47, v12, 0x3beb, v18
	v_add_f16_e32 v21, v42, v21
	v_fma_f16 v5, v52, 0xb08e, -v5
	v_fmac_f16_e32 v18, 0xbbeb, v12
	v_fmamk_f16 v42, v52, 0xbbad, v19
	v_add_f16_e32 v14, v47, v14
	v_mul_f16_e32 v47, 0xbbad, v3
	v_add_f16_e32 v5, v5, v24
	v_add_f16_e32 v18, v18, v25
	;; [unrolled: 1-line block ×3, first 2 shown]
	v_mul_f16_e32 v24, 0x3b47, v50
	v_fmamk_f16 v25, v12, 0xb482, v47
	v_mul_f16_e32 v42, 0x36a6, v3
	v_add_f16_e32 v51, v51, v53
	v_fma_f16 v19, v52, 0xbbad, -v19
	v_fmac_f16_e32 v47, 0x3482, v12
	v_fmamk_f16 v53, v52, 0x36a6, v24
	v_add_f16_e32 v25, v25, v27
	v_fmamk_f16 v27, v12, 0xbb47, v42
	v_add_f16_e32 v19, v19, v22
	v_add_f16_e32 v22, v47, v28
	;; [unrolled: 1-line block ×3, first 2 shown]
	v_mul_f16_e32 v29, 0xb853, v50
	v_fma_f16 v24, v52, 0x36a6, -v24
	v_fmac_f16_e32 v42, 0x3b47, v12
	v_add_f16_e32 v27, v27, v45
	v_mul_f16_e32 v45, 0x3abb, v3
	v_fmamk_f16 v47, v52, 0x3abb, v29
	v_add_f16_e32 v24, v24, v31
	v_add_f16_e32 v31, v42, v43
	v_mul_f16_e32 v42, 0xba0c, v50
	v_fmamk_f16 v43, v12, 0x3853, v45
	v_add_f16_e32 v44, v47, v44
	v_fma_f16 v29, v52, 0x3abb, -v29
	v_fmac_f16_e32 v45, 0xb853, v12
	v_fmamk_f16 v47, v52, 0xb93d, v42
	v_add_f16_e32 v43, v43, v46
	v_mul_f16_e32 v3, 0xb93d, v3
	v_sub_f16_e32 v46, v4, v2
	v_add_f16_e32 v2, v4, v2
	v_add_f16_e32 v29, v29, v30
	;; [unrolled: 1-line block ×4, first 2 shown]
	v_fmamk_f16 v47, v12, 0x3a0c, v3
	v_fma_f16 v42, v52, 0xb93d, -v42
	v_add_f16_e32 v4, v49, v13
	v_mul_f16_e32 v48, 0xba0c, v46
	v_fmac_f16_e32 v3, 0xba0c, v12
	v_sub_f16_e32 v12, v49, v13
	v_mul_f16_e32 v13, 0xb93d, v2
	v_add_f16_e32 v26, v47, v26
	v_fmamk_f16 v47, v4, 0xb93d, v48
	v_add_f16_e32 v20, v42, v20
	v_add_f16_e32 v3, v3, v9
	v_fmamk_f16 v9, v12, 0x3a0c, v13
	v_mul_f16_e32 v42, 0x3beb, v46
	v_fmac_f16_e32 v13, 0xba0c, v12
	v_add_f16_e32 v21, v47, v21
	v_fma_f16 v47, v4, 0xb93d, -v48
	v_add_f16_e32 v9, v9, v14
	v_fmamk_f16 v14, v4, 0xb08e, v42
	v_mul_f16_e32 v48, 0xb08e, v2
	v_add_f16_e32 v13, v13, v18
	v_mul_f16_e32 v18, 0xb853, v46
	v_add_f16_e32 v5, v47, v5
	v_add_f16_e32 v14, v14, v23
	v_fmamk_f16 v23, v12, 0xbbeb, v48
	v_fma_f16 v42, v4, 0xb08e, -v42
	v_fmamk_f16 v47, v4, 0x3abb, v18
	v_mul_f16_e32 v49, 0x3abb, v2
	v_fma_f16 v18, v4, 0x3abb, -v18
	v_add_f16_e32 v23, v23, v25
	v_add_f16_e32 v19, v42, v19
	;; [unrolled: 1-line block ×3, first 2 shown]
	v_fmamk_f16 v28, v12, 0x3853, v49
	v_mul_f16_e32 v42, 0xb482, v46
	v_mul_f16_e32 v47, 0xbbad, v2
	v_add_f16_e32 v18, v18, v24
	v_mul_f16_e32 v46, 0x3b47, v46
	v_add_f16_e32 v27, v28, v27
	v_fmamk_f16 v28, v4, 0xbbad, v42
	v_fmamk_f16 v24, v12, 0x3482, v47
	v_fma_f16 v42, v4, 0xbbad, -v42
	v_fmac_f16_e32 v47, 0xb482, v12
	v_mul_f16_e32 v2, 0x36a6, v2
	v_add_f16_e32 v28, v28, v44
	v_add_f16_e32 v24, v24, v43
	v_fmamk_f16 v43, v4, 0x36a6, v46
	v_add_f16_e32 v29, v42, v29
	v_sub_f16_e32 v42, v0, v1
	v_add_f16_e32 v30, v47, v30
	v_add_f16_e32 v0, v0, v1
	;; [unrolled: 1-line block ×4, first 2 shown]
	v_mul_f16_e32 v47, 0xb482, v42
	v_fmamk_f16 v44, v12, 0xbb47, v2
	v_fma_f16 v1, v4, 0x36a6, -v46
	v_fmac_f16_e32 v2, 0x3b47, v12
	v_sub_f16_e32 v4, v6, v11
	v_fmamk_f16 v6, v45, 0xbbad, v47
	v_mul_f16_e32 v11, 0xbbad, v0
	v_fmac_f16_e32 v48, 0x3beb, v12
	v_fmac_f16_e32 v49, 0xb853, v12
	v_add_f16_e32 v12, v44, v26
	v_add_f16_e32 v1, v1, v20
	;; [unrolled: 1-line block ×4, first 2 shown]
	v_fmamk_f16 v6, v4, 0x3482, v11
	v_mul_f16_e32 v20, 0x3853, v42
	v_fma_f16 v21, v45, 0xbbad, -v47
	v_fmac_f16_e32 v11, 0xb482, v4
	v_mul_f16_e32 v26, 0x3abb, v0
	v_add_f16_e32 v6, v6, v9
	v_fmamk_f16 v9, v45, 0x3abb, v20
	v_add_f16_e32 v5, v21, v5
	v_add_f16_e32 v11, v11, v13
	v_fmamk_f16 v13, v4, 0xb853, v26
	v_mul_f16_e32 v21, 0xba0c, v42
	v_add_f16_e32 v22, v48, v22
	v_add_f16_e32 v9, v9, v14
	v_fma_f16 v14, v45, 0x3abb, -v20
	v_fmac_f16_e32 v26, 0x3853, v4
	v_add_f16_e32 v13, v13, v23
	v_fmamk_f16 v20, v45, 0xb93d, v21
	v_mul_f16_e32 v23, 0xb93d, v0
	v_add_f16_e32 v14, v14, v19
	v_add_f16_e32 v19, v26, v22
	v_mul_f16_e32 v22, 0x3b47, v42
	v_add_f16_e32 v20, v20, v25
	v_fmamk_f16 v25, v4, 0x3a0c, v23
	v_add_f16_e32 v31, v49, v31
	v_fma_f16 v21, v45, 0xb93d, -v21
	v_fmac_f16_e32 v23, 0xba0c, v4
	v_fmamk_f16 v26, v45, 0x36a6, v22
	v_mul_f16_e32 v44, 0x36a6, v0
	v_add_f16_e32 v25, v25, v27
	v_fma_f16 v22, v45, 0x36a6, -v22
	v_mul_f16_e32 v27, 0xbbeb, v42
	v_mul_f16_e32 v0, 0xb08e, v0
	v_add_f16_e32 v18, v21, v18
	v_add_f16_e32 v21, v23, v31
	;; [unrolled: 1-line block ×3, first 2 shown]
	v_fmamk_f16 v26, v4, 0xbb47, v44
	v_add_f16_e32 v22, v22, v29
	v_fmamk_f16 v28, v45, 0xb08e, v27
	v_fmamk_f16 v29, v4, 0x3beb, v0
	v_fmac_f16_e32 v44, 0x3b47, v4
	v_fma_f16 v27, v45, 0xb08e, -v27
	v_fmac_f16_e32 v0, 0xbbeb, v4
	v_pack_b32_f16 v4, v7, v10
	v_pack_b32_f16 v3, v3, v6
	v_add_f16_e32 v24, v26, v24
	v_add_f16_e32 v6, v28, v43
	;; [unrolled: 1-line block ×6, first 2 shown]
	ds_write2_b32 v32, v4, v3 offset1:48
	v_pack_b32_f16 v2, v9, v13
	v_pack_b32_f16 v3, v20, v25
	;; [unrolled: 1-line block ×9, first 2 shown]
	ds_write2_b32 v32, v2, v3 offset0:96 offset1:144
	ds_write2_b32 v32, v4, v6 offset0:192 offset1:240
	;; [unrolled: 1-line block ×4, first 2 shown]
	ds_write_b32 v32, v5 offset:1920
	s_waitcnt lgkmcnt(0)
	s_barrier
	buffer_gl0_inv
	ds_read2_b32 v[4:5], v32 offset1:48
	s_waitcnt lgkmcnt(0)
	v_lshrrev_b32_e32 v2, 16, v4
	v_mul_f16_sdwa v3, v41, v4 dst_sel:DWORD dst_unused:UNUSED_PAD src0_sel:WORD_1 src1_sel:DWORD
	v_mul_f16_sdwa v0, v41, v2 dst_sel:DWORD dst_unused:UNUSED_PAD src0_sel:WORD_1 src1_sel:DWORD
	v_fma_f16 v2, v41, v2, -v3
	v_fmac_f16_e32 v0, v41, v4
	v_cvt_f32_f16_e32 v2, v2
	v_cvt_f32_f16_e32 v0, v0
	v_cvt_f64_f32_e32 v[2:3], v2
	v_cvt_f64_f32_e32 v[0:1], v0
	v_mul_f64 v[3:4], v[2:3], s[4:5]
	v_mul_f64 v[6:7], v[0:1], s[4:5]
	ds_read2_b32 v[1:2], v32 offset0:132 offset1:180
	v_and_or_b32 v3, 0x1ff, v4, v3
	v_lshrrev_b32_e32 v12, 8, v4
	v_bfe_u32 v18, v4, 20, 11
	s_waitcnt lgkmcnt(0)
	v_lshrrev_b32_e32 v13, 16, v1
	v_and_or_b32 v0, 0x1ff, v7, v6
	v_lshrrev_b32_e32 v6, 8, v7
	v_bfe_u32 v9, v7, 20, 11
	v_lshrrev_b32_e32 v4, 16, v4
	v_mul_f16_sdwa v14, v40, v13 dst_sel:DWORD dst_unused:UNUSED_PAD src0_sel:WORD_1 src1_sel:DWORD
	v_cmp_ne_u32_e64 s0, 0, v0
	v_add_nc_u32_e32 v19, 0xfffffc10, v9
	v_fmac_f16_e32 v14, v40, v1
	v_cndmask_b32_e64 v0, 0, 1, s0
	v_cmp_ne_u32_e64 s0, 0, v3
	v_mul_f16_sdwa v1, v40, v1 dst_sel:DWORD dst_unused:UNUSED_PAD src0_sel:WORD_1 src1_sel:DWORD
	v_cmp_eq_u32_e64 s2, 0x40f, v19
	v_and_or_b32 v6, 0xffe, v6, v0
	v_sub_nc_u32_e32 v0, 0x3f1, v9
	v_cndmask_b32_e64 v3, 0, 1, s0
	v_cvt_f32_f16_e32 v9, v14
	v_fma_f16 v1, v40, v13, -v1
	v_or_b32_e32 v10, 0x1000, v6
	v_med3_i32 v0, v0, 0, 13
	v_and_or_b32 v3, 0xffe, v12, v3
	v_sub_nc_u32_e32 v12, 0x3f1, v18
	v_lshl_or_b32 v21, v19, 12, v6
	v_cvt_f32_f16_e32 v1, v1
	v_lshrrev_b32_e32 v11, v0, v10
	v_or_b32_e32 v14, 0x1000, v3
	v_med3_i32 v20, v12, 0, 13
	v_lshlrev_b32_e32 v0, v0, v11
	v_lshrrev_b32_e32 v22, v20, v14
	v_cmp_ne_u32_e64 s0, v0, v10
	v_cvt_f64_f32_e32 v[9:10], v9
	v_lshlrev_b32_e32 v20, v20, v22
	v_cndmask_b32_e64 v0, 0, 1, s0
	v_cmp_gt_i32_e64 s0, 1, v19
	v_or_b32_e32 v0, v11, v0
	v_mad_u64_u32 v[11:12], null, s10, v17, 0
	v_cndmask_b32_e64 v21, v21, v0, s0
	v_cmp_ne_u32_e64 s0, v20, v14
	v_add_nc_u32_e32 v20, 0xfffffc10, v18
	v_mov_b32_e32 v0, v12
	v_and_b32_e32 v23, 7, v21
	v_cndmask_b32_e64 v12, 0, 1, s0
	v_lshrrev_b32_e32 v14, 2, v21
	v_lshl_or_b32 v18, v20, 12, v3
	v_mul_f64 v[9:10], v[9:10], s[4:5]
	v_cmp_lt_i32_e64 s0, 5, v23
	v_cmp_eq_u32_e64 s1, 3, v23
	v_or_b32_e32 v12, v22, v12
	s_or_b32 s0, s1, s0
	v_add_co_ci_u32_e64 v14, s0, 0, v14, s0
	v_cmp_gt_i32_e64 s0, 1, v20
	v_cndmask_b32_e64 v21, v18, v12, s0
	v_cmp_ne_u32_e64 s0, 0, v6
	v_cvt_f64_f32_e32 v[12:13], v1
	v_mad_u64_u32 v[17:18], null, s11, v17, v[0:1]
	v_and_b32_e32 v22, 7, v21
	v_cndmask_b32_e64 v6, 0, 1, s0
	v_cmp_gt_i32_e64 s0, 31, v19
	v_lshrrev_b32_e32 v0, 2, v21
	v_and_or_b32 v1, 0x1ff, v10, v9
	v_cmp_eq_u32_e64 s1, 3, v22
	v_lshl_or_b32 v6, v6, 9, 0x7c00
	v_cndmask_b32_e64 v14, 0x7c00, v14, s0
	v_cmp_lt_i32_e64 s0, 5, v22
	v_bfe_u32 v21, v10, 20, 11
	v_lshrrev_b32_e32 v19, 16, v7
	v_cndmask_b32_e64 v18, v14, v6, s2
	s_or_b32 s0, s1, s0
	v_lshrrev_b32_e32 v14, 8, v10
	v_add_co_ci_u32_e64 v6, s0, 0, v0, s0
	v_cmp_ne_u32_e64 s0, 0, v3
	v_and_or_b32 v18, 0x8000, v19, v18
	v_lshrrev_b32_e32 v10, 16, v10
	v_cndmask_b32_e64 v3, 0, 1, s0
	v_cmp_ne_u32_e64 s0, 0, v1
	ds_read2_b32 v[0:1], v8 offset0:8 offset1:56
	v_lshl_or_b32 v3, v3, 9, 0x7c00
	v_cndmask_b32_e64 v9, 0, 1, s0
	v_cmp_gt_i32_e64 s0, 31, v20
	v_and_or_b32 v9, 0xffe, v14, v9
	v_cndmask_b32_e64 v22, 0x7c00, v6, s0
	v_mul_f64 v[6:7], v[12:13], s[4:5]
	v_sub_nc_u32_e32 v12, 0x3f1, v21
	v_mad_u64_u32 v[13:14], null, s8, v38, 0
	v_or_b32_e32 v23, 0x1000, v9
	v_cmp_eq_u32_e64 s0, 0x40f, v20
	v_med3_i32 v24, v12, 0, 13
	v_mov_b32_e32 v12, v17
	v_add_nc_u32_e32 v21, 0xfffffc10, v21
	v_cndmask_b32_e64 v20, v22, v3, s0
	v_lshrrev_b32_e32 v17, v24, v23
	v_mov_b32_e32 v3, v14
	v_lshlrev_b64 v[11:12], 2, v[11:12]
	v_and_or_b32 v19, 0x8000, v4, v20
	v_lshlrev_b32_e32 v14, v24, v17
	s_waitcnt lgkmcnt(0)
	v_lshrrev_b32_e32 v20, 16, v0
	v_mad_u64_u32 v[3:4], null, s9, v38, v[3:4]
	v_and_b32_e32 v4, 0xffff, v18
	v_cmp_ne_u32_e64 s0, v14, v23
	v_and_or_b32 v6, 0x1ff, v7, v6
	v_mul_f16_sdwa v18, v39, v20 dst_sel:DWORD dst_unused:UNUSED_PAD src0_sel:WORD_1 src1_sel:DWORD
	v_lshrrev_b32_e32 v22, 8, v7
	v_bfe_u32 v23, v7, 20, 11
	v_cndmask_b32_e64 v14, 0, 1, s0
	v_cmp_ne_u32_e64 s0, 0, v6
	v_fmac_f16_e32 v18, v39, v0
	v_lshl_or_b32 v24, v21, 12, v9
	v_lshl_or_b32 v19, v19, 16, v4
	v_or_b32_e32 v14, v17, v14
	v_cndmask_b32_e64 v6, 0, 1, s0
	v_cvt_f32_f16_e32 v18, v18
	v_cmp_gt_i32_e64 s0, 1, v21
	v_mul_f16_sdwa v0, v39, v0 dst_sel:DWORD dst_unused:UNUSED_PAD src0_sel:WORD_1 src1_sel:DWORD
	v_and_or_b32 v6, 0xffe, v22, v6
	v_sub_nc_u32_e32 v22, 0x3f1, v23
	v_cvt_f64_f32_e32 v[17:18], v18
	v_cndmask_b32_e64 v24, v24, v14, s0
	v_mov_b32_e32 v14, v3
	v_or_b32_e32 v25, 0x1000, v6
	v_med3_i32 v22, v22, 0, 13
	v_add_co_u32 v26, s0, s6, v11
	v_and_b32_e32 v3, 7, v24
	v_add_co_ci_u32_e64 v27, s0, s7, v12, s0
	v_lshrrev_b32_e32 v4, v22, v25
	v_lshlrev_b64 v[11:12], 2, v[13:14]
	v_cmp_lt_i32_e64 s0, 5, v3
	v_cmp_eq_u32_e64 s1, 3, v3
	v_lshrrev_b32_e32 v3, 2, v24
	v_lshlrev_b32_e32 v22, v22, v4
	v_add_nc_u32_e32 v23, 0xfffffc10, v23
	v_fma_f16 v0, v39, v20, -v0
	s_or_b32 s0, s1, s0
	v_cmp_ne_u32_e64 s2, v22, v25
	v_mul_f64 v[13:14], v[17:18], s[4:5]
	v_add_co_ci_u32_e64 v17, s0, 0, v3, s0
	v_cndmask_b32_e64 v22, 0, 1, s2
	v_cmp_ne_u32_e64 s0, 0, v9
	v_cvt_f32_f16_e32 v0, v0
	v_or_b32_e32 v3, v4, v22
	v_lshl_or_b32 v4, v23, 12, v6
	v_cndmask_b32_e64 v9, 0, 1, s0
	v_cmp_gt_i32_e64 s0, 1, v23
	v_lshl_or_b32 v9, v9, 9, 0x7c00
	v_cndmask_b32_e64 v20, v4, v3, s0
	v_cmp_gt_i32_e64 s0, 31, v21
	ds_read2_b32 v[3:4], v8 offset0:140 offset1:188
	v_and_b32_e32 v24, 7, v20
	v_cndmask_b32_e64 v22, 0x7c00, v17, s0
	v_cvt_f64_f32_e32 v[17:18], v0
	v_add_co_u32 v11, s0, v26, v11
	v_and_or_b32 v0, 0x1ff, v14, v13
	v_add_co_ci_u32_e64 v12, s0, v27, v12, s0
	v_cmp_eq_u32_e64 s0, 0x40f, v21
	v_cmp_eq_u32_e64 s1, 3, v24
	v_cmp_ne_u32_e64 s2, 0, v0
	v_lshrrev_b32_e32 v13, 2, v20
	v_lshrrev_b32_e32 v20, 8, v14
	v_cndmask_b32_e64 v9, v22, v9, s0
	v_cmp_lt_i32_e64 s0, 5, v24
	v_cndmask_b32_e64 v0, 0, 1, s2
	v_bfe_u32 v21, v14, 20, 11
	s_waitcnt lgkmcnt(0)
	v_lshrrev_b32_e32 v22, 16, v3
	global_store_dword v[11:12], v19, off
	s_or_b32 s0, s1, s0
	v_and_or_b32 v0, 0xffe, v20, v0
	v_add_co_ci_u32_e64 v13, s0, 0, v13, s0
	v_sub_nc_u32_e32 v20, 0x3f1, v21
	v_mul_f64 v[17:18], v[17:18], s[4:5]
	v_mul_f16_sdwa v24, v37, v22 dst_sel:DWORD dst_unused:UNUSED_PAD src0_sel:WORD_1 src1_sel:DWORD
	v_cmp_ne_u32_e64 s0, 0, v6
	v_or_b32_e32 v25, 0x1000, v0
	v_med3_i32 v20, v20, 0, 13
	v_and_or_b32 v9, 0x8000, v10, v9
	v_fmac_f16_e32 v24, v37, v3
	v_cndmask_b32_e64 v6, 0, 1, s0
	v_cmp_gt_i32_e64 s0, 31, v23
	v_lshrrev_b32_e32 v26, v20, v25
	s_mul_i32 s1, s9, 0x84
	v_cvt_f32_f16_e32 v24, v24
	v_lshl_or_b32 v6, v6, 9, 0x7c00
	v_cndmask_b32_e64 v13, 0x7c00, v13, s0
	v_cmp_eq_u32_e64 s0, 0x40f, v23
	v_lshlrev_b32_e32 v19, v20, v26
	v_lshrrev_b32_e32 v23, 16, v7
	s_mul_hi_u32 s2, s8, 0x84
	v_and_b32_e32 v9, 0xffff, v9
	v_cndmask_b32_e64 v13, v13, v6, s0
	v_cvt_f64_f32_e32 v[6:7], v24
	v_cmp_ne_u32_e64 s0, v19, v25
	v_and_or_b32 v17, 0x1ff, v18, v17
	v_add_nc_u32_e32 v19, 0xfffffc10, v21
	v_and_or_b32 v10, 0x8000, v23, v13
	v_lshrrev_b32_e32 v21, 8, v18
	v_cndmask_b32_e64 v13, 0, 1, s0
	v_cmp_ne_u32_e64 s0, 0, v17
	v_lshl_or_b32 v20, v19, 12, v0
	v_bfe_u32 v23, v18, 20, 11
	s_add_i32 s3, s2, s1
	v_or_b32_e32 v13, v26, v13
	v_cndmask_b32_e64 v17, 0, 1, s0
	v_cmp_gt_i32_e64 s0, 1, v19
	s_mul_i32 s2, s8, 0x84
	v_lshl_or_b32 v24, v10, 16, v9
	s_lshl_b64 s[16:17], s[2:3], 2
	v_and_or_b32 v17, 0xffe, v21, v17
	v_cndmask_b32_e64 v13, v20, v13, s0
	v_sub_nc_u32_e32 v20, 0x3f1, v23
	v_add_co_u32 v9, s2, v11, s16
	v_mul_f64 v[6:7], v[6:7], s[4:5]
	v_and_b32_e32 v21, 7, v13
	v_or_b32_e32 v25, 0x1000, v17
	v_med3_i32 v20, v20, 0, 13
	v_lshrrev_b32_e32 v13, 2, v13
	v_mul_f16_sdwa v3, v37, v3 dst_sel:DWORD dst_unused:UNUSED_PAD src0_sel:WORD_1 src1_sel:DWORD
	v_cmp_lt_i32_e64 s0, 5, v21
	v_cmp_eq_u32_e64 s1, 3, v21
	v_lshrrev_b32_e32 v21, v20, v25
	v_add_co_ci_u32_e64 v10, s2, s17, v12, s2
	v_fma_f16 v3, v37, v22, -v3
	s_or_b32 s0, s1, s0
	v_lshlrev_b32_e32 v11, v20, v21
	v_add_co_ci_u32_e64 v13, s0, 0, v13, s0
	v_add_nc_u32_e32 v20, 0xfffffc10, v23
	v_cvt_f32_f16_e32 v3, v3
	v_cmp_ne_u32_e64 s0, v11, v25
	v_lshrrev_b32_e32 v26, 16, v5
	global_store_dword v[9:10], v24, off
	v_lshl_or_b32 v22, v20, 12, v17
	v_and_or_b32 v6, 0x1ff, v7, v6
	v_cndmask_b32_e64 v11, 0, 1, s0
	v_cmp_ne_u32_e64 s0, 0, v0
	v_lshrrev_b32_e32 v23, 8, v7
	v_bfe_u32 v25, v7, 20, 11
	v_lshrrev_b32_e32 v7, 16, v7
	v_or_b32_e32 v21, v21, v11
	v_cndmask_b32_e64 v0, 0, 1, s0
	v_cmp_ne_u32_e64 s0, 0, v6
	v_cvt_f64_f32_e32 v[11:12], v3
	v_lshl_or_b32 v0, v0, 9, 0x7c00
	v_cndmask_b32_e64 v6, 0, 1, s0
	v_cmp_gt_i32_e64 s0, 1, v20
	v_cndmask_b32_e64 v3, v22, v21, s0
	v_cmp_gt_i32_e64 s0, 31, v19
	v_and_or_b32 v21, 0xffe, v23, v6
	v_sub_nc_u32_e32 v6, 0x3f1, v25
	v_and_b32_e32 v22, 7, v3
	v_cndmask_b32_e64 v13, 0x7c00, v13, s0
	v_cmp_eq_u32_e64 s0, 0x40f, v19
	v_or_b32_e32 v23, 0x1000, v21
	v_med3_i32 v6, v6, 0, 13
	v_cmp_eq_u32_e64 s1, 3, v22
	v_lshrrev_b32_e32 v3, 2, v3
	v_cndmask_b32_e64 v0, v13, v0, s0
	v_cmp_lt_i32_e64 s0, 5, v22
	v_lshrrev_b32_e32 v27, v6, v23
	v_mul_f16_sdwa v13, v36, v26 dst_sel:DWORD dst_unused:UNUSED_PAD src0_sel:WORD_1 src1_sel:DWORD
	v_mul_f64 v[11:12], v[11:12], s[4:5]
	v_lshrrev_b32_e32 v19, 16, v14
	s_or_b32 s0, s1, s0
	v_lshlrev_b32_e32 v6, v6, v27
	v_add_co_ci_u32_e64 v3, s0, 0, v3, s0
	v_cmp_ne_u32_e64 s0, 0, v17
	v_fmac_f16_e32 v13, v36, v5
	v_add_nc_u32_e32 v22, 0xfffffc10, v25
	v_and_or_b32 v0, 0x8000, v19, v0
	v_mul_f16_sdwa v5, v36, v5 dst_sel:DWORD dst_unused:UNUSED_PAD src0_sel:WORD_1 src1_sel:DWORD
	v_cndmask_b32_e64 v17, 0, 1, s0
	v_cmp_ne_u32_e64 s0, v6, v23
	v_cvt_f32_f16_e32 v13, v13
	v_lshl_or_b32 v19, v22, 12, v21
	v_and_b32_e32 v0, 0xffff, v0
	v_lshl_or_b32 v17, v17, 9, 0x7c00
	v_cndmask_b32_e64 v6, 0, 1, s0
	v_cmp_gt_i32_e64 s0, 31, v20
	v_cvt_f64_f32_e32 v[13:14], v13
	v_fma_f16 v5, v36, v26, -v5
	v_or_b32_e32 v6, v27, v6
	v_cndmask_b32_e64 v3, 0x7c00, v3, s0
	v_cmp_eq_u32_e64 s0, 0x40f, v20
	v_and_or_b32 v11, 0x1ff, v12, v11
	v_cvt_f32_f16_e32 v23, v5
	v_cndmask_b32_e64 v3, v3, v17, s0
	v_cmp_gt_i32_e64 s0, 1, v22
	v_lshrrev_b32_e32 v17, 16, v18
	v_lshrrev_b32_e32 v18, 8, v12
	v_cndmask_b32_e64 v6, v19, v6, s0
	v_cmp_ne_u32_e64 s0, 0, v11
	v_and_or_b32 v3, 0x8000, v17, v3
	v_bfe_u32 v19, v12, 20, 11
	v_and_b32_e32 v17, 7, v6
	v_cndmask_b32_e64 v11, 0, 1, s0
	v_mul_f64 v[13:14], v[13:14], s[4:5]
	v_lshl_or_b32 v0, v3, 16, v0
	v_lshrrev_b32_e32 v6, 2, v6
	v_cmp_lt_i32_e64 s0, 5, v17
	v_cmp_eq_u32_e64 s1, 3, v17
	v_and_or_b32 v3, 0xffe, v18, v11
	v_sub_nc_u32_e32 v11, 0x3f1, v19
	v_add_nc_u32_e32 v19, 0xfffffc10, v19
	s_or_b32 s0, s1, s0
	v_or_b32_e32 v17, 0x1000, v3
	v_med3_i32 v11, v11, 0, 13
	v_add_co_ci_u32_e64 v18, s0, 0, v6, s0
	v_add_co_u32 v5, s0, v9, s16
	v_add_co_ci_u32_e64 v6, s0, s17, v10, s0
	v_lshrrev_b32_e32 v20, v11, v17
	v_cmp_gt_i32_e64 s0, 31, v22
	v_cvt_f64_f32_e32 v[9:10], v23
	global_store_dword v[5:6], v0, off
	v_and_or_b32 v13, 0x1ff, v14, v13
	v_lshlrev_b32_e32 v11, v11, v20
	v_cndmask_b32_e64 v18, 0x7c00, v18, s0
	v_cmp_ne_u32_e64 s0, 0, v21
	v_bfe_u32 v23, v14, 20, 11
	v_cndmask_b32_e64 v21, 0, 1, s0
	v_cmp_ne_u32_e64 s0, v11, v17
	v_lshrrev_b32_e32 v17, 8, v14
	v_lshrrev_b32_e32 v14, 16, v14
	v_lshl_or_b32 v21, v21, 9, 0x7c00
	v_cndmask_b32_e64 v11, 0, 1, s0
	v_cmp_ne_u32_e64 s0, 0, v13
	v_or_b32_e32 v11, v20, v11
	v_cndmask_b32_e64 v13, 0, 1, s0
	v_cmp_eq_u32_e64 s0, 0x40f, v22
	v_lshl_or_b32 v20, v19, 12, v3
	v_mul_f64 v[9:10], v[9:10], s[4:5]
	v_and_or_b32 v13, 0xffe, v17, v13
	v_sub_nc_u32_e32 v17, 0x3f1, v23
	v_cndmask_b32_e64 v18, v18, v21, s0
	v_cmp_gt_i32_e64 s0, 1, v19
	v_or_b32_e32 v21, 0x1000, v13
	v_med3_i32 v17, v17, 0, 13
	v_and_or_b32 v7, 0x8000, v7, v18
	v_cndmask_b32_e64 v11, v20, v11, s0
	v_lshrrev_b32_e32 v20, 16, v2
	v_lshrrev_b32_e32 v22, v17, v21
	v_and_b32_e32 v7, 0xffff, v7
	v_and_b32_e32 v24, 7, v11
	v_mul_f16_sdwa v0, v35, v20 dst_sel:DWORD dst_unused:UNUSED_PAD src0_sel:WORD_1 src1_sel:DWORD
	v_lshrrev_b32_e32 v11, 2, v11
	v_lshlrev_b32_e32 v17, v17, v22
	v_cmp_lt_i32_e64 s0, 5, v24
	v_cmp_eq_u32_e64 s1, 3, v24
	v_fmac_f16_e32 v0, v35, v2
	v_cmp_ne_u32_e64 s2, v17, v21
	v_add_nc_u32_e32 v21, 0xfffffc10, v23
	v_and_or_b32 v9, 0x1ff, v10, v9
	s_or_b32 s0, s1, s0
	v_cvt_f32_f16_e32 v0, v0
	v_add_co_ci_u32_e64 v11, s0, 0, v11, s0
	v_cndmask_b32_e64 v17, 0, 1, s2
	v_cmp_ne_u32_e64 s0, 0, v3
	v_lshl_or_b32 v23, v21, 12, v13
	s_mul_hi_u32 s2, s8, 0xfffffea4
	v_or_b32_e32 v22, v22, v17
	v_cvt_f64_f32_e32 v[17:18], v0
	v_cndmask_b32_e64 v0, 0, 1, s0
	v_cmp_gt_i32_e64 s0, 1, v21
	v_lshl_or_b32 v0, v0, 9, 0x7c00
	v_cndmask_b32_e64 v3, v23, v22, s0
	v_cmp_ne_u32_e64 s0, 0, v9
	v_lshrrev_b32_e32 v22, 8, v10
	v_bfe_u32 v23, v10, 20, 11
	v_and_b32_e32 v24, 7, v3
	v_cndmask_b32_e64 v9, 0, 1, s0
	v_cmp_gt_i32_e64 s0, 31, v19
	v_lshrrev_b32_e32 v3, 2, v3
	v_cmp_eq_u32_e64 s1, 3, v24
	v_and_or_b32 v9, 0xffe, v22, v9
	v_sub_nc_u32_e32 v22, 0x3f1, v23
	v_cndmask_b32_e64 v11, 0x7c00, v11, s0
	v_cmp_eq_u32_e64 s0, 0x40f, v19
	v_lshrrev_b32_e32 v19, 16, v12
	v_or_b32_e32 v25, 0x1000, v9
	v_med3_i32 v22, v22, 0, 13
	v_cndmask_b32_e64 v0, v11, v0, s0
	v_cmp_lt_i32_e64 s0, 5, v24
	v_mul_f64 v[11:12], v[17:18], s[4:5]
	v_lshrrev_b32_e32 v17, v22, v25
	v_and_or_b32 v0, 0x8000, v19, v0
	s_or_b32 s0, s1, s0
	v_add_co_ci_u32_e64 v3, s0, 0, v3, s0
	v_lshlrev_b32_e32 v18, v22, v17
	v_cmp_gt_i32_e64 s0, 31, v21
	v_lshl_or_b32 v7, v0, 16, v7
	v_mul_f16_sdwa v0, v35, v2 dst_sel:DWORD dst_unused:UNUSED_PAD src0_sel:WORD_1 src1_sel:DWORD
	v_cndmask_b32_e64 v19, 0x7c00, v3, s0
	v_cmp_ne_u32_e64 s0, v18, v25
	v_add_nc_u32_e32 v18, 0xfffffc10, v23
	v_fma_f16 v0, v35, v20, -v0
	v_cndmask_b32_e64 v2, 0, 1, s0
	v_cmp_ne_u32_e64 s0, 0, v13
	v_lshl_or_b32 v13, v18, 12, v9
	v_cvt_f32_f16_e32 v0, v0
	v_and_or_b32 v11, 0x1ff, v12, v11
	v_or_b32_e32 v2, v17, v2
	v_cndmask_b32_e64 v3, 0, 1, s0
	v_cmp_gt_i32_e64 s0, 1, v18
	v_bfe_u32 v20, v12, 20, 11
	v_lshl_or_b32 v17, v3, 9, 0x7c00
	v_cndmask_b32_e64 v13, v13, v2, s0
	v_cvt_f64_f32_e32 v[2:3], v0
	v_cmp_ne_u32_e64 s0, 0, v11
	v_lshrrev_b32_e32 v11, 8, v12
	v_and_b32_e32 v22, 7, v13
	v_lshrrev_b32_e32 v13, 2, v13
	v_cndmask_b32_e64 v0, 0, 1, s0
	v_cmp_eq_u32_e64 s0, 0x40f, v21
	v_lshrrev_b32_e32 v21, 16, v1
	v_cmp_eq_u32_e64 s1, 3, v22
	v_and_or_b32 v0, 0xffe, v11, v0
	v_cndmask_b32_e64 v17, v19, v17, s0
	v_cmp_lt_i32_e64 s0, 5, v22
	v_sub_nc_u32_e32 v11, 0x3f1, v20
	v_mul_f16_sdwa v23, v34, v21 dst_sel:DWORD dst_unused:UNUSED_PAD src0_sel:WORD_1 src1_sel:DWORD
	v_or_b32_e32 v19, 0x1000, v0
	v_and_or_b32 v14, 0x8000, v14, v17
	s_or_b32 s0, s1, s0
	v_med3_i32 v11, v11, 0, 13
	v_add_co_ci_u32_e64 v13, s0, 0, v13, s0
	v_cmp_ne_u32_e64 s0, 0, v9
	v_mul_f64 v[2:3], v[2:3], s[4:5]
	v_lshrrev_b32_e32 v22, v11, v19
	v_fmac_f16_e32 v23, v34, v1
	s_mul_i32 s1, s9, 0xfffffea4
	v_cndmask_b32_e64 v9, 0, 1, s0
	v_cmp_gt_i32_e64 s0, 31, v18
	v_lshlrev_b32_e32 v11, v11, v22
	v_and_b32_e32 v14, 0xffff, v14
	v_mul_f16_sdwa v1, v34, v1 dst_sel:DWORD dst_unused:UNUSED_PAD src0_sel:WORD_1 src1_sel:DWORD
	v_lshl_or_b32 v9, v9, 9, 0x7c00
	v_cndmask_b32_e64 v13, 0x7c00, v13, s0
	v_cmp_eq_u32_e64 s0, 0x40f, v18
	v_lshrrev_b32_e32 v18, 16, v10
	v_fma_f16 v1, v34, v21, -v1
	v_lshrrev_b32_e32 v21, 16, v4
	v_cndmask_b32_e64 v13, v13, v9, s0
	v_cmp_ne_u32_e64 s0, v11, v19
	v_cvt_f32_f16_e32 v9, v23
	v_add_nc_u32_e32 v19, 0xfffffc10, v20
	v_mul_f16_sdwa v25, v33, v21 dst_sel:DWORD dst_unused:UNUSED_PAD src0_sel:WORD_1 src1_sel:DWORD
	v_and_or_b32 v13, 0x8000, v18, v13
	v_cndmask_b32_e64 v11, 0, 1, s0
	v_cvt_f64_f32_e32 v[9:10], v9
	v_add_co_u32 v5, s0, v5, s16
	v_add_co_ci_u32_e64 v6, s0, s17, v6, s0
	v_or_b32_e32 v11, v22, v11
	v_lshl_or_b32 v17, v19, 12, v0
	v_and_or_b32 v2, 0x1ff, v3, v2
	v_cmp_gt_i32_e64 s0, 1, v19
	v_bfe_u32 v18, v3, 20, 11
	v_fmac_f16_e32 v25, v33, v4
	v_mul_f16_sdwa v4, v33, v4 dst_sel:DWORD dst_unused:UNUSED_PAD src0_sel:WORD_1 src1_sel:DWORD
	v_cndmask_b32_e64 v11, v17, v11, s0
	v_cmp_ne_u32_e64 s0, 0, v2
	v_lshrrev_b32_e32 v17, 8, v3
	v_fma_f16 v4, v33, v21, -v4
	v_and_b32_e32 v20, 7, v11
	v_cndmask_b32_e64 v2, 0, 1, s0
	s_sub_i32 s0, s2, s8
	v_lshrrev_b32_e32 v11, 2, v11
	s_add_i32 s3, s0, s1
	v_cmp_lt_i32_e64 s0, 5, v20
	v_and_or_b32 v2, 0xffe, v17, v2
	v_sub_nc_u32_e32 v17, 0x3f1, v18
	v_cmp_eq_u32_e64 s1, 3, v20
	v_mul_f64 v[9:10], v[9:10], s[4:5]
	v_lshl_or_b32 v20, v13, 16, v14
	v_or_b32_e32 v22, 0x1000, v2
	v_med3_i32 v17, v17, 0, 13
	s_or_b32 s0, s1, s0
	s_mul_i32 s2, s8, 0xfffffea4
	v_add_co_ci_u32_e64 v11, s0, 0, v11, s0
	v_lshrrev_b32_e32 v13, v17, v22
	v_cmp_ne_u32_e64 s0, 0, v0
	s_lshl_b64 s[6:7], s[2:3], 2
	v_cvt_f32_f16_e32 v4, v4
	v_lshlrev_b32_e32 v14, v17, v13
	v_cndmask_b32_e64 v0, 0, 1, s0
	v_cmp_gt_i32_e64 s0, 31, v19
	v_add_nc_u32_e32 v17, 0xfffffc10, v18
	v_lshl_or_b32 v0, v0, 9, 0x7c00
	v_cndmask_b32_e64 v11, 0x7c00, v11, s0
	v_cmp_ne_u32_e64 s0, v14, v22
	v_and_or_b32 v9, 0x1ff, v10, v9
	v_cndmask_b32_e64 v14, 0, 1, s0
	v_cmp_eq_u32_e64 s0, 0x40f, v19
	v_bfe_u32 v19, v10, 20, 11
	v_cndmask_b32_e64 v18, v11, v0, s0
	v_cmp_ne_u32_e64 s0, 0, v9
	v_cvt_f32_f16_e32 v0, v1
	v_or_b32_e32 v11, v13, v14
	v_lshl_or_b32 v13, v17, 12, v2
	v_lshrrev_b32_e32 v14, 8, v10
	v_cndmask_b32_e64 v9, 0, 1, s0
	v_cmp_gt_i32_e64 s0, 1, v17
	v_cvt_f64_f32_e32 v[0:1], v0
	v_lshrrev_b32_e32 v10, 16, v10
	v_and_or_b32 v9, 0xffe, v14, v9
	v_cndmask_b32_e64 v13, v13, v11, s0
	v_sub_nc_u32_e32 v11, 0x3f1, v19
	v_lshrrev_b32_e32 v14, 16, v12
	v_add_nc_u32_e32 v19, 0xfffffc10, v19
	v_or_b32_e32 v23, 0x1000, v9
	v_and_b32_e32 v22, 7, v13
	v_med3_i32 v24, v11, 0, 13
	v_add_co_u32 v11, s0, v5, s6
	v_add_co_ci_u32_e64 v12, s0, s7, v6, s0
	v_lshrrev_b32_e32 v26, v24, v23
	v_cmp_lt_i32_e64 s0, 5, v22
	v_cmp_eq_u32_e64 s1, 3, v22
	v_lshrrev_b32_e32 v13, 2, v13
	v_and_or_b32 v18, 0x8000, v14, v18
	v_lshlrev_b32_e32 v22, v24, v26
	v_cvt_f32_f16_e32 v14, v25
	s_or_b32 s0, s1, s0
	v_mul_f64 v[0:1], v[0:1], s[4:5]
	v_add_co_ci_u32_e64 v24, s0, 0, v13, s0
	v_cmp_ne_u32_e64 s0, v22, v23
	v_cvt_f64_f32_e32 v[13:14], v14
	v_lshl_or_b32 v23, v19, 12, v9
	v_and_b32_e32 v18, 0xffff, v18
	v_cndmask_b32_e64 v22, 0, 1, s0
	v_cmp_ne_u32_e64 s0, 0, v2
	v_or_b32_e32 v22, v26, v22
	v_cndmask_b32_e64 v2, 0, 1, s0
	v_cmp_gt_i32_e64 s0, 31, v17
	v_lshl_or_b32 v2, v2, 9, 0x7c00
	v_cndmask_b32_e64 v21, 0x7c00, v24, s0
	v_cmp_gt_i32_e64 s0, 1, v19
	v_and_or_b32 v0, 0x1ff, v1, v0
	v_bfe_u32 v24, v1, 20, 11
	v_cndmask_b32_e64 v22, v23, v22, s0
	v_cmp_eq_u32_e64 s0, 0x40f, v17
	v_mul_f64 v[13:14], v[13:14], s[4:5]
	v_lshrrev_b32_e32 v23, 8, v1
	v_lshrrev_b32_e32 v1, 16, v1
	v_cndmask_b32_e64 v17, v21, v2, s0
	v_lshrrev_b32_e32 v21, 16, v3
	v_cvt_f64_f32_e32 v[2:3], v4
	v_cmp_ne_u32_e64 s0, 0, v0
	v_and_b32_e32 v4, 7, v22
	v_and_or_b32 v17, 0x8000, v21, v17
	v_sub_nc_u32_e32 v21, 0x3f1, v24
	v_cndmask_b32_e64 v0, 0, 1, s0
	v_cmp_lt_i32_e64 s0, 5, v4
	v_cmp_eq_u32_e64 s1, 3, v4
	v_lshl_or_b32 v4, v17, 16, v18
	v_lshrrev_b32_e32 v17, 2, v22
	v_and_or_b32 v0, 0xffe, v23, v0
	v_med3_i32 v21, v21, 0, 13
	s_or_b32 s0, s1, s0
	v_add_co_ci_u32_e64 v17, s0, 0, v17, s0
	v_or_b32_e32 v18, 0x1000, v0
	v_cmp_ne_u32_e64 s0, 0, v9
	v_and_or_b32 v13, 0x1ff, v14, v13
	v_lshrrev_b32_e32 v23, 8, v14
	v_bfe_u32 v25, v14, 20, 11
	v_lshrrev_b32_e32 v22, v21, v18
	v_cndmask_b32_e64 v9, 0, 1, s0
	v_cmp_gt_i32_e64 s0, 31, v19
	v_mul_f64 v[2:3], v[2:3], s[4:5]
	v_lshrrev_b32_e32 v14, 16, v14
	v_lshlrev_b32_e32 v21, v21, v22
	v_lshl_or_b32 v9, v9, 9, 0x7c00
	v_cndmask_b32_e64 v17, 0x7c00, v17, s0
	v_cmp_ne_u32_e64 s0, 0, v13
	v_cndmask_b32_e64 v13, 0, 1, s0
	v_cmp_ne_u32_e64 s0, v21, v18
	v_add_nc_u32_e32 v21, 0xfffffc10, v24
	v_and_or_b32 v13, 0xffe, v23, v13
	v_cndmask_b32_e64 v18, 0, 1, s0
	v_sub_nc_u32_e32 v23, 0x3f1, v25
	v_cmp_eq_u32_e64 s0, 0x40f, v19
	v_or_b32_e32 v19, 0x1000, v13
	v_and_or_b32 v2, 0x1ff, v3, v2
	v_cndmask_b32_e64 v9, v17, v9, s0
	v_or_b32_e32 v17, v22, v18
	v_lshl_or_b32 v18, v21, 12, v0
	v_med3_i32 v22, v23, 0, 13
	v_cmp_gt_i32_e64 s0, 1, v21
	v_lshrrev_b32_e32 v23, 8, v3
	v_bfe_u32 v24, v3, 20, 11
	v_and_or_b32 v9, 0x8000, v10, v9
	v_cndmask_b32_e64 v17, v18, v17, s0
	v_lshrrev_b32_e32 v18, v22, v19
	v_cmp_ne_u32_e64 s0, 0, v2
	v_sub_nc_u32_e32 v10, 0x3f1, v24
	v_and_b32_e32 v26, 7, v17
	v_lshlrev_b32_e32 v22, v22, v18
	v_cndmask_b32_e64 v2, 0, 1, s0
	v_lshrrev_b32_e32 v17, 2, v17
	v_med3_i32 v10, v10, 0, 13
	v_cmp_lt_i32_e64 s0, 5, v26
	v_cmp_ne_u32_e64 s1, v22, v19
	v_and_or_b32 v2, 0xffe, v23, v2
	v_add_nc_u32_e32 v23, 0xfffffc10, v25
	v_cndmask_b32_e64 v19, 0, 1, s1
	v_cmp_eq_u32_e64 s1, 3, v26
	v_or_b32_e32 v22, 0x1000, v2
	v_lshl_or_b32 v25, v23, 12, v13
	v_or_b32_e32 v18, v18, v19
	s_or_b32 s0, s1, s0
	v_lshrrev_b32_e32 v19, v10, v22
	v_add_co_ci_u32_e64 v17, s0, 0, v17, s0
	v_cmp_gt_i32_e64 s0, 1, v23
	v_lshlrev_b32_e32 v10, v10, v19
	v_cndmask_b32_e64 v18, v25, v18, s0
	v_cmp_ne_u32_e64 s0, 0, v0
	v_cndmask_b32_e64 v0, 0, 1, s0
	v_cmp_ne_u32_e64 s0, v10, v22
	v_add_nc_u32_e32 v22, 0xfffffc10, v24
	v_and_b32_e32 v24, 7, v18
	v_lshl_or_b32 v0, v0, 9, 0x7c00
	v_cndmask_b32_e64 v10, 0, 1, s0
	v_cmp_gt_i32_e64 s0, 31, v21
	v_cmp_gt_i32_e64 s2, 1, v22
	v_cmp_eq_u32_e64 s1, 3, v24
	v_or_b32_e32 v10, v19, v10
	v_lshl_or_b32 v19, v22, 12, v2
	v_cndmask_b32_e64 v17, 0x7c00, v17, s0
	v_cmp_lt_i32_e64 s0, 5, v24
	v_cndmask_b32_e64 v10, v19, v10, s2
	v_cmp_eq_u32_e64 s2, 0x40f, v21
	s_or_b32 s0, s1, s0
	v_cndmask_b32_e64 v0, v17, v0, s2
	v_lshrrev_b32_e32 v17, 2, v18
	v_and_b32_e32 v18, 7, v10
	v_lshrrev_b32_e32 v10, 2, v10
	v_cmp_gt_i32_e64 s2, 31, v23
	v_and_or_b32 v0, 0x8000, v1, v0
	v_add_co_ci_u32_e64 v17, s0, 0, v17, s0
	v_cmp_ne_u32_e64 s0, 0, v13
	v_cmp_eq_u32_e64 s1, 3, v18
	v_and_b32_e32 v1, 0xffff, v9
	v_cndmask_b32_e64 v17, 0x7c00, v17, s2
	v_cndmask_b32_e64 v13, 0, 1, s0
	v_cmp_lt_i32_e64 s0, 5, v18
	v_lshl_or_b32 v13, v13, 9, 0x7c00
	s_or_b32 s0, s1, s0
	v_add_co_ci_u32_e64 v10, s0, 0, v10, s0
	v_cmp_ne_u32_e64 s0, 0, v2
	v_cndmask_b32_e64 v2, 0, 1, s0
	v_cmp_eq_u32_e64 s0, 0x40f, v23
	v_lshl_or_b32 v2, v2, 9, 0x7c00
	v_cndmask_b32_e64 v13, v17, v13, s0
	v_cmp_gt_i32_e64 s0, 31, v22
	v_and_or_b32 v9, 0x8000, v14, v13
	v_cndmask_b32_e64 v10, 0x7c00, v10, s0
	v_cmp_eq_u32_e64 s0, 0x40f, v22
	v_lshrrev_b32_e32 v13, 16, v3
	v_lshl_or_b32 v14, v0, 16, v1
	v_and_b32_e32 v1, 0xffff, v9
	v_cndmask_b32_e64 v10, v10, v2, s0
	v_add_co_u32 v2, s0, v11, s16
	v_add_co_ci_u32_e64 v3, s0, s17, v12, s0
	v_and_or_b32 v0, 0x8000, v13, v10
	v_add_co_u32 v9, s0, v2, s16
	v_add_co_ci_u32_e64 v10, s0, s17, v3, s0
	v_lshl_or_b32 v13, v0, 16, v1
	v_add_co_u32 v0, s0, v9, s16
	v_add_co_ci_u32_e64 v1, s0, s17, v10, s0
	global_store_dword v[5:6], v7, off
	global_store_dword v[11:12], v20, off
	;; [unrolled: 1-line block ×5, first 2 shown]
	s_and_b32 exec_lo, exec_lo, vcc_lo
	s_cbranch_execz .LBB0_31
; %bb.30:
	s_clause 0x3
	global_load_dword v6, v[15:16], off offset:384
	global_load_dword v7, v[15:16], off offset:912
	;; [unrolled: 1-line block ×4, first 2 shown]
	ds_read2_b32 v[2:3], v32 offset0:96 offset1:228
	ds_read2_b32 v[4:5], v8 offset0:104 offset1:236
	v_add_co_u32 v0, vcc_lo, v0, s6
	v_add_co_ci_u32_e32 v1, vcc_lo, s7, v1, vcc_lo
	v_add_co_u32 v18, vcc_lo, v0, s16
	v_add_co_ci_u32_e32 v19, vcc_lo, s17, v1, vcc_lo
	;; [unrolled: 2-line block ×3, first 2 shown]
	s_waitcnt lgkmcnt(1)
	v_lshrrev_b32_e32 v8, 16, v2
	v_lshrrev_b32_e32 v10, 16, v3
	s_waitcnt lgkmcnt(0)
	v_lshrrev_b32_e32 v13, 16, v4
	v_lshrrev_b32_e32 v14, 16, v5
	s_waitcnt vmcnt(3)
	v_mul_f16_sdwa v11, v8, v6 dst_sel:DWORD dst_unused:UNUSED_PAD src0_sel:DWORD src1_sel:WORD_1
	v_mul_f16_sdwa v15, v2, v6 dst_sel:DWORD dst_unused:UNUSED_PAD src0_sel:DWORD src1_sel:WORD_1
	s_waitcnt vmcnt(2)
	v_mul_f16_sdwa v16, v10, v7 dst_sel:DWORD dst_unused:UNUSED_PAD src0_sel:DWORD src1_sel:WORD_1
	s_waitcnt vmcnt(1)
	v_mul_f16_sdwa v17, v13, v9 dst_sel:DWORD dst_unused:UNUSED_PAD src0_sel:DWORD src1_sel:WORD_1
	v_fmac_f16_e32 v11, v2, v6
	v_mul_f16_sdwa v2, v3, v7 dst_sel:DWORD dst_unused:UNUSED_PAD src0_sel:DWORD src1_sel:WORD_1
	v_fma_f16 v6, v6, v8, -v15
	v_fmac_f16_e32 v16, v3, v7
	v_mul_f16_sdwa v8, v4, v9 dst_sel:DWORD dst_unused:UNUSED_PAD src0_sel:DWORD src1_sel:WORD_1
	v_cvt_f32_f16_e32 v11, v11
	v_fma_f16 v10, v7, v10, -v2
	v_cvt_f32_f16_e32 v6, v6
	v_fmac_f16_e32 v17, v4, v9
	v_cvt_f32_f16_e32 v4, v16
	v_cvt_f64_f32_e32 v[2:3], v11
	v_cvt_f32_f16_e32 v10, v10
	v_cvt_f64_f32_e32 v[6:7], v6
	v_fma_f16 v13, v9, v13, -v8
	v_cvt_f64_f32_e32 v[8:9], v4
	s_waitcnt vmcnt(0)
	v_mul_f16_sdwa v15, v14, v12 dst_sel:DWORD dst_unused:UNUSED_PAD src0_sel:DWORD src1_sel:WORD_1
	v_mul_f16_sdwa v16, v5, v12 dst_sel:DWORD dst_unused:UNUSED_PAD src0_sel:DWORD src1_sel:WORD_1
	v_cvt_f32_f16_e32 v17, v17
	v_cvt_f64_f32_e32 v[10:11], v10
	v_cvt_f32_f16_e32 v13, v13
	v_fmac_f16_e32 v15, v5, v12
	v_fma_f16 v12, v12, v14, -v16
	v_cvt_f64_f32_e32 v[4:5], v17
	v_cvt_f32_f16_e32 v14, v15
	v_cvt_f32_f16_e32 v16, v12
	v_cvt_f64_f32_e32 v[12:13], v13
	v_cvt_f64_f32_e32 v[14:15], v14
	;; [unrolled: 1-line block ×3, first 2 shown]
	v_mul_f64 v[2:3], v[2:3], s[4:5]
	v_mul_f64 v[6:7], v[6:7], s[4:5]
	;; [unrolled: 1-line block ×8, first 2 shown]
	v_and_or_b32 v2, 0x1ff, v3, v2
	v_lshrrev_b32_e32 v22, 8, v3
	v_and_or_b32 v6, 0x1ff, v7, v6
	v_bfe_u32 v23, v3, 20, 11
	v_and_or_b32 v8, 0x1ff, v9, v8
	v_cmp_ne_u32_e32 vcc_lo, 0, v2
	v_lshrrev_b32_e32 v24, 8, v7
	v_bfe_u32 v25, v7, 20, 11
	v_and_or_b32 v10, 0x1ff, v11, v10
	v_lshrrev_b32_e32 v26, 8, v9
	v_cndmask_b32_e64 v2, 0, 1, vcc_lo
	v_cmp_ne_u32_e32 vcc_lo, 0, v6
	v_and_or_b32 v4, 0x1ff, v5, v4
	v_bfe_u32 v27, v9, 20, 11
	v_bfe_u32 v29, v11, 20, 11
	v_and_or_b32 v2, 0xffe, v22, v2
	v_cndmask_b32_e64 v6, 0, 1, vcc_lo
	v_cmp_ne_u32_e32 vcc_lo, 0, v8
	v_and_or_b32 v12, 0x1ff, v13, v12
	v_sub_nc_u32_e32 v38, 0x3f1, v23
	v_and_or_b32 v14, 0x1ff, v15, v14
	v_and_or_b32 v16, 0x1ff, v17, v16
	v_cndmask_b32_e64 v8, 0, 1, vcc_lo
	v_cmp_ne_u32_e32 vcc_lo, 0, v10
	v_add_nc_u32_e32 v23, 0xfffffc10, v23
	v_sub_nc_u32_e32 v39, 0x3f1, v25
	v_and_or_b32 v6, 0xffe, v24, v6
	v_lshrrev_b32_e32 v28, 8, v11
	v_cndmask_b32_e64 v10, 0, 1, vcc_lo
	v_cmp_ne_u32_e32 vcc_lo, 0, v4
	v_bfe_u32 v31, v5, 20, 11
	v_bfe_u32 v33, v13, 20, 11
	v_add_nc_u32_e32 v25, 0xfffffc10, v25
	v_sub_nc_u32_e32 v40, 0x3f1, v27
	v_cndmask_b32_e64 v4, 0, 1, vcc_lo
	v_cmp_ne_u32_e32 vcc_lo, 0, v12
	v_sub_nc_u32_e32 v41, 0x3f1, v29
	v_med3_i32 v22, v38, 0, 13
	v_med3_i32 v24, v39, 0, 13
	v_and_or_b32 v8, 0xffe, v26, v8
	v_cndmask_b32_e64 v12, 0, 1, vcc_lo
	v_cmp_ne_u32_e32 vcc_lo, 0, v14
	v_or_b32_e32 v38, 0x1000, v2
	v_lshl_or_b32 v39, v23, 12, v2
	v_lshrrev_b32_e32 v30, 8, v5
	v_lshrrev_b32_e32 v32, 8, v13
	v_cndmask_b32_e64 v14, 0, 1, vcc_lo
	v_cmp_ne_u32_e32 vcc_lo, 0, v16
	v_bfe_u32 v35, v15, 20, 11
	v_bfe_u32 v37, v17, 20, 11
	v_add_nc_u32_e32 v27, 0xfffffc10, v27
	v_sub_nc_u32_e32 v42, 0x3f1, v31
	v_cndmask_b32_e64 v16, 0, 1, vcc_lo
	v_cmp_ne_u32_e32 vcc_lo, 0, v2
	v_sub_nc_u32_e32 v43, 0x3f1, v33
	v_med3_i32 v26, v40, 0, 13
	v_and_or_b32 v10, 0xffe, v28, v10
	v_med3_i32 v28, v41, 0, 13
	v_cndmask_b32_e64 v2, 0, 1, vcc_lo
	v_cmp_ne_u32_e32 vcc_lo, 0, v6
	v_or_b32_e32 v40, 0x1000, v6
	v_lshl_or_b32 v41, v25, 12, v6
	v_lshrrev_b32_e32 v34, 8, v15
	v_lshrrev_b32_e32 v36, 8, v17
	v_cndmask_b32_e64 v6, 0, 1, vcc_lo
	v_cmp_ne_u32_e32 vcc_lo, 0, v8
	v_add_nc_u32_e32 v29, 0xfffffc10, v29
	v_sub_nc_u32_e32 v44, 0x3f1, v35
	v_sub_nc_u32_e32 v45, 0x3f1, v37
	v_and_or_b32 v4, 0xffe, v30, v4
	v_med3_i32 v30, v42, 0, 13
	v_and_or_b32 v12, 0xffe, v32, v12
	v_med3_i32 v32, v43, 0, 13
	v_or_b32_e32 v42, 0x1000, v8
	v_lshl_or_b32 v43, v27, 12, v8
	v_cndmask_b32_e64 v8, 0, 1, vcc_lo
	v_cmp_ne_u32_e32 vcc_lo, 0, v10
	v_add_nc_u32_e32 v31, 0xfffffc10, v31
	v_and_or_b32 v14, 0xffe, v34, v14
	v_med3_i32 v34, v44, 0, 13
	v_and_or_b32 v16, 0xffe, v36, v16
	v_med3_i32 v36, v45, 0, 13
	v_or_b32_e32 v44, 0x1000, v10
	v_lshl_or_b32 v45, v29, 12, v10
	v_cndmask_b32_e64 v10, 0, 1, vcc_lo
	v_cmp_ne_u32_e32 vcc_lo, 0, v4
	v_add_nc_u32_e32 v33, 0xfffffc10, v33
	v_or_b32_e32 v46, 0x1000, v4
	v_lshl_or_b32 v47, v31, 12, v4
	v_add_nc_u32_e32 v35, 0xfffffc10, v35
	v_cndmask_b32_e64 v4, 0, 1, vcc_lo
	v_cmp_ne_u32_e32 vcc_lo, 0, v12
	v_or_b32_e32 v48, 0x1000, v12
	v_lshl_or_b32 v49, v33, 12, v12
	v_lshrrev_b32_e32 v54, v22, v38
	v_add_nc_u32_e32 v37, 0xfffffc10, v37
	v_cndmask_b32_e64 v12, 0, 1, vcc_lo
	v_cmp_ne_u32_e32 vcc_lo, 0, v14
	v_or_b32_e32 v50, 0x1000, v14
	v_lshl_or_b32 v51, v35, 12, v14
	v_lshrrev_b32_e32 v55, v24, v40
	v_lshlrev_b32_e32 v22, v22, v54
	v_cndmask_b32_e64 v14, 0, 1, vcc_lo
	v_cmp_ne_u32_e32 vcc_lo, 0, v16
	v_or_b32_e32 v52, 0x1000, v16
	v_lshl_or_b32 v53, v37, 12, v16
	v_lshrrev_b32_e32 v56, v26, v42
	v_lshlrev_b32_e32 v24, v24, v55
	v_cndmask_b32_e64 v16, 0, 1, vcc_lo
	v_cmp_ne_u32_e32 vcc_lo, v22, v38
	v_lshrrev_b32_e32 v57, v28, v44
	v_lshlrev_b32_e32 v26, v26, v56
	v_lshrrev_b32_e32 v58, v30, v46
	v_lshrrev_b32_e32 v59, v32, v48
	v_cndmask_b32_e64 v22, 0, 1, vcc_lo
	v_cmp_ne_u32_e32 vcc_lo, v24, v40
	v_lshlrev_b32_e32 v28, v28, v57
	v_lshlrev_b32_e32 v30, v30, v58
	v_lshrrev_b32_e32 v60, v34, v50
	v_lshlrev_b32_e32 v32, v32, v59
	v_cndmask_b32_e64 v24, 0, 1, vcc_lo
	v_cmp_ne_u32_e32 vcc_lo, v26, v42
	v_lshrrev_b32_e32 v61, v36, v52
	v_lshlrev_b32_e32 v34, v34, v60
	v_or_b32_e32 v22, v54, v22
	v_or_b32_e32 v24, v55, v24
	v_cndmask_b32_e64 v26, 0, 1, vcc_lo
	v_cmp_ne_u32_e32 vcc_lo, v28, v44
	v_lshlrev_b32_e32 v36, v36, v61
	v_lshl_or_b32 v2, v2, 9, 0x7c00
	v_lshl_or_b32 v6, v6, 9, 0x7c00
	v_or_b32_e32 v26, v56, v26
	v_cndmask_b32_e64 v28, 0, 1, vcc_lo
	v_cmp_ne_u32_e32 vcc_lo, v30, v46
	v_lshl_or_b32 v8, v8, 9, 0x7c00
	v_lshl_or_b32 v10, v10, 9, 0x7c00
	;; [unrolled: 1-line block ×3, first 2 shown]
	v_or_b32_e32 v28, v57, v28
	v_cndmask_b32_e64 v30, 0, 1, vcc_lo
	v_cmp_ne_u32_e32 vcc_lo, v32, v48
	v_lshl_or_b32 v12, v12, 9, 0x7c00
	v_lshl_or_b32 v14, v14, 9, 0x7c00
	v_lshrrev_b32_e32 v3, 16, v3
	v_or_b32_e32 v30, v58, v30
	v_cndmask_b32_e64 v32, 0, 1, vcc_lo
	v_cmp_ne_u32_e32 vcc_lo, v34, v50
	v_lshrrev_b32_e32 v9, 16, v9
	v_lshrrev_b32_e32 v5, 16, v5
	;; [unrolled: 1-line block ×3, first 2 shown]
	v_or_b32_e32 v32, v59, v32
	v_cndmask_b32_e64 v34, 0, 1, vcc_lo
	v_cmp_ne_u32_e32 vcc_lo, v36, v52
	v_lshl_or_b32 v16, v16, 9, 0x7c00
	v_lshrrev_b32_e32 v7, 16, v7
	v_lshrrev_b32_e32 v11, 16, v11
	v_or_b32_e32 v34, v60, v34
	v_cndmask_b32_e64 v36, 0, 1, vcc_lo
	v_cmp_gt_i32_e32 vcc_lo, 1, v23
	v_lshrrev_b32_e32 v13, 16, v13
	v_lshrrev_b32_e32 v17, 16, v17
	v_or_b32_e32 v36, v61, v36
	v_cndmask_b32_e32 v22, v39, v22, vcc_lo
	v_cmp_gt_i32_e32 vcc_lo, 1, v25
	v_and_b32_e32 v38, 7, v22
	v_cndmask_b32_e32 v24, v41, v24, vcc_lo
	v_cmp_gt_i32_e32 vcc_lo, 1, v27
	v_lshrrev_b32_e32 v22, 2, v22
	v_cmp_eq_u32_e64 s0, 3, v38
	v_and_b32_e32 v39, 7, v24
	v_cndmask_b32_e32 v26, v43, v26, vcc_lo
	v_cmp_gt_i32_e32 vcc_lo, 1, v29
	v_lshrrev_b32_e32 v24, 2, v24
	v_cmp_lt_i32_e64 s1, 5, v39
	v_and_b32_e32 v40, 7, v26
	v_cndmask_b32_e32 v28, v45, v28, vcc_lo
	v_cmp_gt_i32_e32 vcc_lo, 1, v31
	v_cmp_eq_u32_e64 s2, 3, v39
	v_lshrrev_b32_e32 v26, 2, v26
	v_cmp_lt_i32_e64 s3, 5, v40
	v_and_b32_e32 v41, 7, v28
	v_cndmask_b32_e32 v30, v47, v30, vcc_lo
	v_cmp_gt_i32_e32 vcc_lo, 1, v33
	v_cmp_eq_u32_e64 s4, 3, v40
	;; [unrolled: 6-line block ×4, first 2 shown]
	v_lshrrev_b32_e32 v32, 2, v32
	v_cmp_lt_i32_e64 s9, 5, v43
	v_and_b32_e32 v44, 7, v34
	v_cndmask_b32_e32 v36, v53, v36, vcc_lo
	v_cmp_lt_i32_e32 vcc_lo, 5, v38
	v_cmp_eq_u32_e64 s10, 3, v43
	v_lshrrev_b32_e32 v34, 2, v34
	v_cmp_lt_i32_e64 s11, 5, v44
	v_and_b32_e32 v45, 7, v36
	s_or_b32 vcc_lo, s0, vcc_lo
	v_cmp_eq_u32_e64 s12, 3, v44
	v_add_co_ci_u32_e32 v22, vcc_lo, 0, v22, vcc_lo
	s_or_b32 vcc_lo, s2, s1
	v_cmp_lt_i32_e64 s13, 5, v45
	v_add_co_ci_u32_e32 v24, vcc_lo, 0, v24, vcc_lo
	s_or_b32 vcc_lo, s4, s3
	v_cmp_eq_u32_e64 s14, 3, v45
	v_add_co_ci_u32_e32 v26, vcc_lo, 0, v26, vcc_lo
	s_or_b32 vcc_lo, s6, s5
	v_lshrrev_b32_e32 v36, 2, v36
	v_add_co_ci_u32_e32 v28, vcc_lo, 0, v28, vcc_lo
	s_or_b32 vcc_lo, s8, s7
	v_add_co_ci_u32_e32 v30, vcc_lo, 0, v30, vcc_lo
	s_or_b32 vcc_lo, s10, s9
	;; [unrolled: 2-line block ×4, first 2 shown]
	v_add_co_ci_u32_e32 v36, vcc_lo, 0, v36, vcc_lo
	v_cmp_gt_i32_e32 vcc_lo, 31, v23
	v_cndmask_b32_e32 v22, 0x7c00, v22, vcc_lo
	v_cmp_gt_i32_e32 vcc_lo, 31, v25
	v_cndmask_b32_e32 v24, 0x7c00, v24, vcc_lo
	v_cmp_gt_i32_e32 vcc_lo, 31, v27
	v_cndmask_b32_e32 v26, 0x7c00, v26, vcc_lo
	v_cmp_gt_i32_e32 vcc_lo, 31, v29
	v_cndmask_b32_e32 v28, 0x7c00, v28, vcc_lo
	v_cmp_gt_i32_e32 vcc_lo, 31, v31
	v_cndmask_b32_e32 v30, 0x7c00, v30, vcc_lo
	v_cmp_gt_i32_e32 vcc_lo, 31, v33
	v_cndmask_b32_e32 v32, 0x7c00, v32, vcc_lo
	v_cmp_gt_i32_e32 vcc_lo, 31, v35
	v_cndmask_b32_e32 v34, 0x7c00, v34, vcc_lo
	v_cmp_gt_i32_e32 vcc_lo, 31, v37
	v_cndmask_b32_e32 v36, 0x7c00, v36, vcc_lo
	v_cmp_eq_u32_e32 vcc_lo, 0x40f, v23
	v_cndmask_b32_e32 v2, v22, v2, vcc_lo
	v_cmp_eq_u32_e32 vcc_lo, 0x40f, v25
	v_and_or_b32 v2, 0x8000, v3, v2
	v_cndmask_b32_e32 v6, v24, v6, vcc_lo
	v_cmp_eq_u32_e32 vcc_lo, 0x40f, v27
	v_and_or_b32 v6, 0x8000, v7, v6
	;; [unrolled: 3-line block ×4, first 2 shown]
	v_cndmask_b32_e32 v4, v30, v4, vcc_lo
	v_cmp_eq_u32_e32 vcc_lo, 0x40f, v33
	v_and_b32_e32 v10, 0xffff, v2
	v_and_b32_e32 v11, 0xffff, v3
	v_and_or_b32 v4, 0x8000, v5, v4
	v_cndmask_b32_e32 v12, v32, v12, vcc_lo
	v_cmp_eq_u32_e32 vcc_lo, 0x40f, v35
	v_lshl_or_b32 v6, v6, 16, v10
	v_lshl_or_b32 v7, v7, 16, v11
	v_and_b32_e32 v4, 0xffff, v4
	v_and_or_b32 v5, 0x8000, v13, v12
	v_cndmask_b32_e32 v14, v34, v14, vcc_lo
	v_cmp_eq_u32_e32 vcc_lo, 0x40f, v37
	v_lshl_or_b32 v4, v5, 16, v4
	v_and_or_b32 v8, 0x8000, v15, v14
	v_cndmask_b32_e32 v16, v36, v16, vcc_lo
	v_add_co_u32 v2, vcc_lo, v20, s16
	v_add_co_ci_u32_e32 v3, vcc_lo, s17, v21, vcc_lo
	v_and_or_b32 v9, 0x8000, v17, v16
	v_and_b32_e32 v8, 0xffff, v8
	v_lshl_or_b32 v5, v9, 16, v8
	global_store_dword v[0:1], v6, off
	global_store_dword v[18:19], v7, off
	;; [unrolled: 1-line block ×4, first 2 shown]
.LBB0_31:
	s_endpgm
	.section	.rodata,"a",@progbits
	.p2align	6, 0x0
	.amdhsa_kernel bluestein_single_fwd_len528_dim1_half_op_CI_CI
		.amdhsa_group_segment_fixed_size 2112
		.amdhsa_private_segment_fixed_size 0
		.amdhsa_kernarg_size 104
		.amdhsa_user_sgpr_count 6
		.amdhsa_user_sgpr_private_segment_buffer 1
		.amdhsa_user_sgpr_dispatch_ptr 0
		.amdhsa_user_sgpr_queue_ptr 0
		.amdhsa_user_sgpr_kernarg_segment_ptr 1
		.amdhsa_user_sgpr_dispatch_id 0
		.amdhsa_user_sgpr_flat_scratch_init 0
		.amdhsa_user_sgpr_private_segment_size 0
		.amdhsa_wavefront_size32 1
		.amdhsa_uses_dynamic_stack 0
		.amdhsa_system_sgpr_private_segment_wavefront_offset 0
		.amdhsa_system_sgpr_workgroup_id_x 1
		.amdhsa_system_sgpr_workgroup_id_y 0
		.amdhsa_system_sgpr_workgroup_id_z 0
		.amdhsa_system_sgpr_workgroup_info 0
		.amdhsa_system_vgpr_workitem_id 0
		.amdhsa_next_free_vgpr 144
		.amdhsa_next_free_sgpr 18
		.amdhsa_reserve_vcc 1
		.amdhsa_reserve_flat_scratch 0
		.amdhsa_float_round_mode_32 0
		.amdhsa_float_round_mode_16_64 0
		.amdhsa_float_denorm_mode_32 3
		.amdhsa_float_denorm_mode_16_64 3
		.amdhsa_dx10_clamp 1
		.amdhsa_ieee_mode 1
		.amdhsa_fp16_overflow 0
		.amdhsa_workgroup_processor_mode 1
		.amdhsa_memory_ordered 1
		.amdhsa_forward_progress 0
		.amdhsa_shared_vgpr_count 0
		.amdhsa_exception_fp_ieee_invalid_op 0
		.amdhsa_exception_fp_denorm_src 0
		.amdhsa_exception_fp_ieee_div_zero 0
		.amdhsa_exception_fp_ieee_overflow 0
		.amdhsa_exception_fp_ieee_underflow 0
		.amdhsa_exception_fp_ieee_inexact 0
		.amdhsa_exception_int_div_zero 0
	.end_amdhsa_kernel
	.text
.Lfunc_end0:
	.size	bluestein_single_fwd_len528_dim1_half_op_CI_CI, .Lfunc_end0-bluestein_single_fwd_len528_dim1_half_op_CI_CI
                                        ; -- End function
	.section	.AMDGPU.csdata,"",@progbits
; Kernel info:
; codeLenInByte = 19152
; NumSgprs: 20
; NumVgprs: 144
; ScratchSize: 0
; MemoryBound: 0
; FloatMode: 240
; IeeeMode: 1
; LDSByteSize: 2112 bytes/workgroup (compile time only)
; SGPRBlocks: 2
; VGPRBlocks: 17
; NumSGPRsForWavesPerEU: 20
; NumVGPRsForWavesPerEU: 144
; Occupancy: 7
; WaveLimiterHint : 1
; COMPUTE_PGM_RSRC2:SCRATCH_EN: 0
; COMPUTE_PGM_RSRC2:USER_SGPR: 6
; COMPUTE_PGM_RSRC2:TRAP_HANDLER: 0
; COMPUTE_PGM_RSRC2:TGID_X_EN: 1
; COMPUTE_PGM_RSRC2:TGID_Y_EN: 0
; COMPUTE_PGM_RSRC2:TGID_Z_EN: 0
; COMPUTE_PGM_RSRC2:TIDIG_COMP_CNT: 0
	.text
	.p2alignl 6, 3214868480
	.fill 48, 4, 3214868480
	.type	__hip_cuid_1643cd21f9b0604a,@object ; @__hip_cuid_1643cd21f9b0604a
	.section	.bss,"aw",@nobits
	.globl	__hip_cuid_1643cd21f9b0604a
__hip_cuid_1643cd21f9b0604a:
	.byte	0                               ; 0x0
	.size	__hip_cuid_1643cd21f9b0604a, 1

	.ident	"AMD clang version 19.0.0git (https://github.com/RadeonOpenCompute/llvm-project roc-6.4.0 25133 c7fe45cf4b819c5991fe208aaa96edf142730f1d)"
	.section	".note.GNU-stack","",@progbits
	.addrsig
	.addrsig_sym __hip_cuid_1643cd21f9b0604a
	.amdgpu_metadata
---
amdhsa.kernels:
  - .args:
      - .actual_access:  read_only
        .address_space:  global
        .offset:         0
        .size:           8
        .value_kind:     global_buffer
      - .actual_access:  read_only
        .address_space:  global
        .offset:         8
        .size:           8
        .value_kind:     global_buffer
      - .actual_access:  read_only
        .address_space:  global
        .offset:         16
        .size:           8
        .value_kind:     global_buffer
      - .actual_access:  read_only
        .address_space:  global
        .offset:         24
        .size:           8
        .value_kind:     global_buffer
      - .actual_access:  read_only
        .address_space:  global
        .offset:         32
        .size:           8
        .value_kind:     global_buffer
      - .offset:         40
        .size:           8
        .value_kind:     by_value
      - .address_space:  global
        .offset:         48
        .size:           8
        .value_kind:     global_buffer
      - .address_space:  global
        .offset:         56
        .size:           8
        .value_kind:     global_buffer
      - .address_space:  global
        .offset:         64
        .size:           8
        .value_kind:     global_buffer
      - .address_space:  global
        .offset:         72
        .size:           8
        .value_kind:     global_buffer
      - .offset:         80
        .size:           4
        .value_kind:     by_value
      - .address_space:  global
        .offset:         88
        .size:           8
        .value_kind:     global_buffer
      - .address_space:  global
        .offset:         96
        .size:           8
        .value_kind:     global_buffer
    .group_segment_fixed_size: 2112
    .kernarg_segment_align: 8
    .kernarg_segment_size: 104
    .language:       OpenCL C
    .language_version:
      - 2
      - 0
    .max_flat_workgroup_size: 48
    .name:           bluestein_single_fwd_len528_dim1_half_op_CI_CI
    .private_segment_fixed_size: 0
    .sgpr_count:     20
    .sgpr_spill_count: 0
    .symbol:         bluestein_single_fwd_len528_dim1_half_op_CI_CI.kd
    .uniform_work_group_size: 1
    .uses_dynamic_stack: false
    .vgpr_count:     144
    .vgpr_spill_count: 0
    .wavefront_size: 32
    .workgroup_processor_mode: 1
amdhsa.target:   amdgcn-amd-amdhsa--gfx1030
amdhsa.version:
  - 1
  - 2
...

	.end_amdgpu_metadata
